;; amdgpu-corpus repo=ROCm/rocFFT kind=compiled arch=gfx906 opt=O3
	.text
	.amdgcn_target "amdgcn-amd-amdhsa--gfx906"
	.amdhsa_code_object_version 6
	.protected	bluestein_single_back_len845_dim1_dp_op_CI_CI ; -- Begin function bluestein_single_back_len845_dim1_dp_op_CI_CI
	.globl	bluestein_single_back_len845_dim1_dp_op_CI_CI
	.p2align	8
	.type	bluestein_single_back_len845_dim1_dp_op_CI_CI,@function
bluestein_single_back_len845_dim1_dp_op_CI_CI: ; @bluestein_single_back_len845_dim1_dp_op_CI_CI
; %bb.0:
	v_mul_u32_u24_e32 v1, 0x3f1, v0
	s_mov_b64 s[50:51], s[2:3]
	s_load_dwordx4 s[16:19], s[4:5], 0x28
	v_lshrrev_b32_e32 v1, 16, v1
	s_mov_b64 s[48:49], s[0:1]
	v_mad_u64_u32 v[208:209], s[0:1], s6, 3, v[1:2]
	v_mov_b32_e32 v209, 0
	s_add_u32 s48, s48, s7
	s_waitcnt lgkmcnt(0)
	v_cmp_gt_u64_e32 vcc, s[16:17], v[208:209]
	s_addc_u32 s49, s49, 0
	s_and_saveexec_b64 s[0:1], vcc
	s_cbranch_execz .LBB0_10
; %bb.1:
	s_load_dwordx4 s[0:3], s[4:5], 0x18
	s_load_dwordx4 s[12:15], s[4:5], 0x0
	v_mul_lo_u16_e32 v1, 0x41, v1
	v_sub_u16_e32 v217, v0, v1
	s_mov_b32 s21, 0xbfddbe06
	s_waitcnt lgkmcnt(0)
	s_load_dwordx4 s[8:11], s[0:1], 0x0
	s_mov_b32 s20, 0x4267c47c
	s_mov_b32 s16, 0xe00740e9
	;; [unrolled: 1-line block ×4, first 2 shown]
	s_waitcnt lgkmcnt(0)
	v_mad_u64_u32 v[0:1], s[0:1], s10, v208, 0
	v_mad_u64_u32 v[2:3], s[0:1], s8, v217, 0
	s_mul_i32 s6, s9, 0x410
	s_mul_hi_u32 s7, s8, 0x410
	v_mad_u64_u32 v[4:5], s[0:1], s11, v208, v[1:2]
	s_add_i32 s6, s7, s6
	s_mul_i32 s7, s8, 0x410
	v_mad_u64_u32 v[5:6], s[0:1], s9, v217, v[3:4]
	v_mov_b32_e32 v1, v4
	v_lshlrev_b64 v[0:1], 4, v[0:1]
	v_mov_b32_e32 v3, v5
	v_mov_b32_e32 v6, s19
	v_lshlrev_b64 v[2:3], 4, v[2:3]
	v_add_co_u32_e32 v0, vcc, s18, v0
	v_addc_co_u32_e32 v1, vcc, v6, v1, vcc
	v_lshlrev_b32_e32 v4, 4, v217
	v_add_co_u32_e32 v0, vcc, v0, v2
	v_mov_b32_e32 v2, s13
	v_add_co_u32_e64 v225, s[0:1], s12, v4
	v_addc_co_u32_e32 v1, vcc, v1, v3, vcc
	v_addc_co_u32_e64 v5, vcc, 0, v2, s[0:1]
	global_load_dwordx4 v[52:55], v[0:1], off
	v_mov_b32_e32 v2, s6
	v_add_co_u32_e32 v0, vcc, s7, v0
	v_addc_co_u32_e32 v1, vcc, v1, v2, vcc
	global_load_dwordx4 v[48:51], v4, s[12:13]
	global_load_dwordx4 v[24:27], v4, s[12:13] offset:1040
	v_mov_b32_e32 v3, s6
	v_add_co_u32_e32 v2, vcc, s7, v0
	v_addc_co_u32_e32 v3, vcc, v1, v3, vcc
	global_load_dwordx4 v[56:59], v[0:1], off
	global_load_dwordx4 v[60:63], v[2:3], off
	v_mov_b32_e32 v1, s6
	v_add_co_u32_e32 v0, vcc, s7, v2
	v_addc_co_u32_e32 v1, vcc, v3, v1, vcc
	v_mov_b32_e32 v3, s6
	v_add_co_u32_e32 v2, vcc, s7, v0
	v_addc_co_u32_e32 v3, vcc, v1, v3, vcc
	s_movk_i32 s8, 0x1000
	global_load_dwordx4 v[32:35], v4, s[12:13] offset:2080
	global_load_dwordx4 v[12:15], v4, s[12:13] offset:3120
	global_load_dwordx4 v[64:67], v[0:1], off
	global_load_dwordx4 v[68:71], v[2:3], off
	v_add_co_u32_e32 v0, vcc, s8, v225
	v_addc_co_u32_e32 v1, vcc, 0, v5, vcc
	v_mov_b32_e32 v6, s6
	v_add_co_u32_e32 v2, vcc, s7, v2
	v_addc_co_u32_e32 v3, vcc, v3, v6, vcc
	global_load_dwordx4 v[72:75], v[2:3], off
	global_load_dwordx4 v[44:47], v[0:1], off offset:64
	global_load_dwordx4 v[16:19], v[0:1], off offset:1104
	v_add_co_u32_e32 v2, vcc, s7, v2
	v_addc_co_u32_e32 v3, vcc, v3, v6, vcc
	global_load_dwordx4 v[76:79], v[2:3], off
	v_add_co_u32_e32 v2, vcc, s7, v2
	v_addc_co_u32_e32 v3, vcc, v3, v6, vcc
	global_load_dwordx4 v[80:83], v[2:3], off
	global_load_dwordx4 v[36:39], v[0:1], off offset:2144
	global_load_dwordx4 v[120:123], v[0:1], off offset:3184
	v_mov_b32_e32 v1, s6
	v_add_co_u32_e32 v0, vcc, s7, v2
	v_addc_co_u32_e32 v1, vcc, v3, v1, vcc
	s_movk_i32 s8, 0x2000
	v_add_co_u32_e32 v20, vcc, s8, v225
	v_addc_co_u32_e32 v21, vcc, 0, v5, vcc
	global_load_dwordx4 v[84:87], v[0:1], off
	v_mov_b32_e32 v2, s6
	v_add_co_u32_e32 v0, vcc, s7, v0
	v_addc_co_u32_e32 v1, vcc, v1, v2, vcc
	global_load_dwordx4 v[88:91], v[0:1], off
	global_load_dwordx4 v[40:43], v[20:21], off offset:128
	global_load_dwordx4 v[124:127], v[20:21], off offset:1168
	v_add_co_u32_e32 v0, vcc, s7, v0
	v_addc_co_u32_e32 v1, vcc, v1, v2, vcc
	v_add_co_u32_e32 v22, vcc, s7, v0
	v_addc_co_u32_e32 v23, vcc, v1, v2, vcc
	global_load_dwordx4 v[92:95], v[0:1], off
	global_load_dwordx4 v[96:99], v[22:23], off
	global_load_dwordx4 v[28:31], v[20:21], off offset:2208
	global_load_dwordx4 v[6:9], v[20:21], off offset:3248
	v_mov_b32_e32 v0, s6
	v_add_co_u32_e32 v20, vcc, s7, v22
	v_addc_co_u32_e32 v21, vcc, v23, v0, vcc
	s_movk_i32 s6, 0x3000
	global_load_dwordx4 v[100:103], v[20:21], off
	v_add_co_u32_e32 v20, vcc, s6, v225
	s_mov_b32 s6, 0xaaaaaaab
	v_mul_hi_u32 v0, v208, s6
	v_addc_co_u32_e32 v21, vcc, 0, v5, vcc
	s_waitcnt vmcnt(23)
	v_mul_f64 v[104:105], v[54:55], v[50:51]
	v_mul_f64 v[106:107], v[52:53], v[50:51]
	v_lshrrev_b32_e32 v0, 1, v0
	v_lshl_add_u32 v0, v0, 1, v0
	v_sub_u32_e32 v0, v208, v0
	v_mul_u32_u24_e32 v0, 0x34d, v0
	v_lshlrev_b32_e32 v219, 4, v0
	v_add_u32_e32 v218, v4, v219
	v_fma_f64 v[52:53], v[52:53], v[48:49], v[104:105]
	v_fma_f64 v[54:55], v[54:55], v[48:49], -v[106:107]
	s_waitcnt vmcnt(21)
	v_mul_f64 v[104:105], v[58:59], v[26:27]
	v_mul_f64 v[106:107], v[56:57], v[26:27]
	global_load_dwordx4 v[20:23], v[20:21], off offset:192
	s_load_dwordx4 s[8:11], s[2:3], 0x0
	s_mov_b32 s38, 0x66966769
	s_mov_b32 s22, 0x2ef20147
	;; [unrolled: 1-line block ×3, first 2 shown]
	s_waitcnt vmcnt(20)
	v_mul_f64 v[108:109], v[62:63], v[34:35]
	v_mul_f64 v[110:111], v[60:61], v[34:35]
	s_waitcnt vmcnt(18)
	v_mul_f64 v[112:113], v[66:67], v[14:15]
	v_mul_f64 v[114:115], v[64:65], v[14:15]
	v_fma_f64 v[56:57], v[56:57], v[24:25], v[104:105]
	v_fma_f64 v[58:59], v[58:59], v[24:25], -v[106:107]
	s_mov_b32 s36, 0x4bc48dbf
	s_mov_b32 s29, 0xbfea55e2
	v_fma_f64 v[60:61], v[60:61], v[32:33], v[108:109]
	v_fma_f64 v[62:63], v[62:63], v[32:33], -v[110:111]
	v_fma_f64 v[64:65], v[64:65], v[12:13], v[112:113]
	s_waitcnt vmcnt(15)
	v_mul_f64 v[116:117], v[70:71], v[46:47]
	v_mul_f64 v[118:119], v[68:69], v[46:47]
	v_fma_f64 v[66:67], v[66:67], v[12:13], -v[114:115]
	s_mov_b32 s39, 0xbfefc445
	s_mov_b32 s23, 0xbfedeba7
	;; [unrolled: 1-line block ×4, first 2 shown]
	s_load_dwordx2 s[2:3], s[4:5], 0x38
	v_fma_f64 v[68:69], v[68:69], v[44:45], v[116:117]
	v_fma_f64 v[70:71], v[70:71], v[44:45], -v[118:119]
	ds_write_b128 v218, v[52:55]
	ds_write_b128 v218, v[56:59] offset:1040
	ds_write_b128 v218, v[60:63] offset:2080
	;; [unrolled: 1-line block ×4, first 2 shown]
	s_waitcnt vmcnt(11)
	v_mul_f64 v[56:57], v[78:79], v[38:39]
	s_waitcnt vmcnt(10)
	v_mul_f64 v[60:61], v[82:83], v[122:123]
	v_mul_f64 v[58:59], v[76:77], v[38:39]
	;; [unrolled: 1-line block ×5, first 2 shown]
	s_mov_b32 s6, 0x1ea71119
	s_mov_b32 s4, 0xebaa3ed8
	v_fma_f64 v[56:57], v[76:77], v[36:37], v[56:57]
	v_fma_f64 v[60:61], v[80:81], v[120:121], v[60:61]
	buffer_store_dword v120, off, s[48:51], 0 offset:16 ; 4-byte Folded Spill
	s_nop 0
	buffer_store_dword v121, off, s[48:51], 0 offset:20 ; 4-byte Folded Spill
	buffer_store_dword v122, off, s[48:51], 0 offset:24 ; 4-byte Folded Spill
	;; [unrolled: 1-line block ×3, first 2 shown]
	v_fma_f64 v[58:59], v[78:79], v[36:37], -v[58:59]
	v_fma_f64 v[52:53], v[72:73], v[16:17], v[52:53]
	s_waitcnt vmcnt(11)
	v_mul_f64 v[64:65], v[86:87], v[42:43]
	s_waitcnt vmcnt(10)
	v_mul_f64 v[68:69], v[90:91], v[126:127]
	v_mul_f64 v[70:71], v[88:89], v[126:127]
	;; [unrolled: 1-line block ×3, first 2 shown]
	v_fma_f64 v[54:55], v[74:75], v[16:17], -v[54:55]
	s_mov_b32 s18, 0xb2365da1
	s_mov_b32 s24, 0xd0032e0c
	;; [unrolled: 1-line block ×3, first 2 shown]
	v_fma_f64 v[64:65], v[84:85], v[40:41], v[64:65]
	v_fma_f64 v[68:69], v[88:89], v[124:125], v[68:69]
	buffer_store_dword v124, off, s[48:51], 0 offset:32 ; 4-byte Folded Spill
	s_nop 0
	buffer_store_dword v125, off, s[48:51], 0 offset:36 ; 4-byte Folded Spill
	buffer_store_dword v126, off, s[48:51], 0 offset:40 ; 4-byte Folded Spill
	;; [unrolled: 1-line block ×3, first 2 shown]
	s_waitcnt vmcnt(10)
	v_mul_f64 v[76:77], v[98:99], v[8:9]
	v_mul_f64 v[78:79], v[96:97], v[8:9]
	;; [unrolled: 1-line block ×4, first 2 shown]
	v_fma_f64 v[66:67], v[86:87], v[40:41], -v[66:67]
	s_mov_b32 s7, 0x3fe22d96
	s_mov_b32 s5, 0x3fbedb7d
	;; [unrolled: 1-line block ×3, first 2 shown]
	v_fma_f64 v[76:77], v[96:97], v[6:7], v[76:77]
	buffer_store_dword v6, off, s[48:51], 0 ; 4-byte Folded Spill
	s_nop 0
	buffer_store_dword v7, off, s[48:51], 0 offset:4 ; 4-byte Folded Spill
	buffer_store_dword v8, off, s[48:51], 0 offset:8 ; 4-byte Folded Spill
	;; [unrolled: 1-line block ×3, first 2 shown]
	v_fma_f64 v[72:73], v[92:93], v[28:29], v[72:73]
	v_fma_f64 v[74:75], v[94:95], v[28:29], -v[74:75]
	s_mov_b32 s25, 0xbfe7f3cc
	s_mov_b32 s35, 0xbfef11f4
	;; [unrolled: 1-line block ×8, first 2 shown]
	v_mul_lo_u16_e32 v0, 13, v217
	v_lshl_add_u32 v222, v0, 4, v219
	v_cmp_gt_u16_e32 vcc, 39, v217
	s_waitcnt vmcnt(12)
	v_mul_f64 v[80:81], v[102:103], v[22:23]
	v_fma_f64 v[80:81], v[100:101], v[20:21], v[80:81]
	v_fma_f64 v[62:63], v[82:83], v[120:121], -v[62:63]
	v_mul_f64 v[82:83], v[100:101], v[22:23]
	v_fma_f64 v[82:83], v[102:103], v[20:21], -v[82:83]
	v_fma_f64 v[70:71], v[90:91], v[124:125], -v[70:71]
	;; [unrolled: 1-line block ×3, first 2 shown]
	ds_write_b128 v218, v[52:55] offset:5200
	ds_write_b128 v218, v[56:59] offset:6240
	;; [unrolled: 1-line block ×8, first 2 shown]
	s_waitcnt vmcnt(0) lgkmcnt(0)
	s_barrier
	ds_read_b128 v[72:75], v218
	ds_read_b128 v[52:55], v218 offset:1040
	ds_read_b128 v[76:79], v218 offset:2080
	;; [unrolled: 1-line block ×5, first 2 shown]
	s_waitcnt lgkmcnt(4)
	v_add_f64 v[56:57], v[72:73], v[52:53]
	v_add_f64 v[58:59], v[74:75], v[54:55]
	s_waitcnt lgkmcnt(3)
	v_add_f64 v[56:57], v[56:57], v[76:77]
	v_add_f64 v[58:59], v[58:59], v[78:79]
	;; [unrolled: 3-line block ×5, first 2 shown]
	ds_read_b128 v[56:59], v218 offset:6240
	s_waitcnt lgkmcnt(0)
	v_add_f64 v[68:69], v[60:61], v[56:57]
	v_add_f64 v[70:71], v[62:63], v[58:59]
	ds_read_b128 v[60:63], v218 offset:7280
	s_waitcnt lgkmcnt(0)
	v_add_f64 v[88:89], v[68:69], v[60:61]
	v_add_f64 v[90:91], v[70:71], v[62:63]
	;; [unrolled: 4-line block ×3, first 2 shown]
	ds_read_b128 v[88:91], v218 offset:9360
	ds_read_b128 v[92:95], v218 offset:12480
	s_waitcnt lgkmcnt(0)
	v_add_f64 v[108:109], v[54:55], -v[94:95]
	v_add_f64 v[104:105], v[96:97], v[88:89]
	v_add_f64 v[106:107], v[98:99], v[90:91]
	v_add_f64 v[110:111], v[52:53], -v[92:93]
	ds_read_b128 v[96:99], v218 offset:10400
	ds_read_b128 v[100:103], v218 offset:11440
	v_add_f64 v[112:113], v[52:53], v[92:93]
	v_add_f64 v[114:115], v[54:55], v[94:95]
	s_waitcnt lgkmcnt(0)
	v_mul_f64 v[116:117], v[108:109], s[20:21]
	v_add_f64 v[104:105], v[104:105], v[96:97]
	v_add_f64 v[106:107], v[106:107], v[98:99]
	v_mul_f64 v[118:119], v[110:111], s[20:21]
	v_mul_f64 v[120:121], v[108:109], s[38:39]
	;; [unrolled: 1-line block ×6, first 2 shown]
	v_add_f64 v[52:53], v[104:105], v[100:101]
	v_add_f64 v[54:55], v[106:107], v[102:103]
	v_fma_f64 v[104:105], v[112:113], s[16:17], -v[116:117]
	v_fma_f64 v[106:107], v[114:115], s[16:17], v[118:119]
	v_mul_f64 v[138:139], v[110:111], s[26:27]
	v_add_f64 v[148:149], v[78:79], -v[102:103]
	v_add_f64 v[150:151], v[76:77], -v[100:101]
	v_fma_f64 v[128:129], v[112:113], s[4:5], -v[120:121]
	v_add_f64 v[52:53], v[52:53], v[92:93]
	v_add_f64 v[54:55], v[54:55], v[94:95]
	;; [unrolled: 1-line block ×4, first 2 shown]
	v_fma_f64 v[104:105], v[112:113], s[16:17], v[116:117]
	v_fma_f64 v[106:107], v[114:115], s[16:17], -v[118:119]
	v_mul_f64 v[116:117], v[108:109], s[28:29]
	v_mul_f64 v[118:119], v[110:111], s[28:29]
	;; [unrolled: 1-line block ×4, first 2 shown]
	v_fma_f64 v[130:131], v[114:115], s[4:5], v[122:123]
	v_fma_f64 v[120:121], v[112:113], s[4:5], v[120:121]
	v_fma_f64 v[122:123], v[114:115], s[4:5], -v[122:123]
	v_fma_f64 v[140:141], v[112:113], s[18:19], -v[132:133]
	;; [unrolled: 1-line block ×3, first 2 shown]
	v_fma_f64 v[126:127], v[114:115], s[6:7], v[118:119]
	v_fma_f64 v[116:117], v[112:113], s[6:7], v[116:117]
	v_fma_f64 v[118:119], v[114:115], s[6:7], -v[118:119]
	v_fma_f64 v[142:143], v[114:115], s[18:19], v[134:135]
	v_fma_f64 v[132:133], v[112:113], s[18:19], v[132:133]
	v_fma_f64 v[134:135], v[114:115], s[18:19], -v[134:135]
	v_fma_f64 v[144:145], v[112:113], s[24:25], -v[136:137]
	v_fma_f64 v[146:147], v[114:115], s[24:25], v[138:139]
	v_fma_f64 v[136:137], v[112:113], s[24:25], v[136:137]
	v_fma_f64 v[138:139], v[114:115], s[24:25], -v[138:139]
	v_add_f64 v[76:77], v[76:77], v[100:101]
	v_add_f64 v[78:79], v[78:79], v[102:103]
	v_mul_f64 v[100:101], v[148:149], s[28:29]
	v_mul_f64 v[102:103], v[150:151], s[28:29]
	v_fma_f64 v[152:153], v[112:113], s[34:35], -v[108:109]
	v_fma_f64 v[154:155], v[114:115], s[34:35], v[110:111]
	v_fma_f64 v[108:109], v[112:113], s[34:35], v[108:109]
	v_fma_f64 v[110:111], v[114:115], s[34:35], -v[110:111]
	v_add_f64 v[104:105], v[72:73], v[104:105]
	v_add_f64 v[106:107], v[74:75], v[106:107]
	;; [unrolled: 1-line block ×18, first 2 shown]
	v_fma_f64 v[136:137], v[76:77], s[6:7], -v[100:101]
	v_fma_f64 v[138:139], v[78:79], s[6:7], v[102:103]
	v_add_f64 v[152:153], v[72:73], v[152:153]
	v_add_f64 v[154:155], v[74:75], v[154:155]
	;; [unrolled: 1-line block ×4, first 2 shown]
	v_mul_f64 v[108:109], v[148:149], s[22:23]
	v_mul_f64 v[110:111], v[150:151], s[22:23]
	v_add_f64 v[92:93], v[136:137], v[92:93]
	v_add_f64 v[94:95], v[138:139], v[94:95]
	v_mul_f64 v[136:137], v[148:149], s[36:37]
	v_mul_f64 v[138:139], v[150:151], s[36:37]
	v_fma_f64 v[100:101], v[76:77], s[6:7], v[100:101]
	v_fma_f64 v[102:103], v[78:79], s[6:7], -v[102:103]
	v_fma_f64 v[156:157], v[76:77], s[18:19], -v[108:109]
	v_fma_f64 v[158:159], v[78:79], s[18:19], v[110:111]
	v_fma_f64 v[108:109], v[76:77], s[18:19], v[108:109]
	v_fma_f64 v[110:111], v[78:79], s[18:19], -v[110:111]
	v_fma_f64 v[160:161], v[76:77], s[34:35], -v[136:137]
	v_fma_f64 v[162:163], v[78:79], s[34:35], v[138:139]
	v_add_f64 v[100:101], v[100:101], v[104:105]
	v_add_f64 v[102:103], v[102:103], v[106:107]
	;; [unrolled: 1-line block ×4, first 2 shown]
	v_mul_f64 v[124:125], v[148:149], s[40:41]
	v_mul_f64 v[126:127], v[150:151], s[40:41]
	v_add_f64 v[108:109], v[108:109], v[116:117]
	v_add_f64 v[110:111], v[110:111], v[118:119]
	;; [unrolled: 1-line block ×4, first 2 shown]
	v_mul_f64 v[128:129], v[148:149], s[30:31]
	v_fma_f64 v[130:131], v[76:77], s[34:35], v[136:137]
	v_fma_f64 v[136:137], v[78:79], s[34:35], -v[138:139]
	v_mul_f64 v[138:139], v[150:151], s[30:31]
	v_fma_f64 v[156:157], v[76:77], s[24:25], -v[124:125]
	v_fma_f64 v[158:159], v[78:79], s[24:25], v[126:127]
	v_fma_f64 v[126:127], v[78:79], s[24:25], -v[126:127]
	v_fma_f64 v[124:125], v[76:77], s[24:25], v[124:125]
	v_fma_f64 v[160:161], v[76:77], s[4:5], -v[128:129]
	v_add_f64 v[120:121], v[130:131], v[120:121]
	v_add_f64 v[122:123], v[136:137], v[122:123]
	v_fma_f64 v[130:131], v[78:79], s[4:5], v[138:139]
	v_add_f64 v[136:137], v[156:157], v[140:141]
	v_add_f64 v[140:141], v[158:159], v[142:143]
	;; [unrolled: 1-line block ×3, first 2 shown]
	v_add_f64 v[134:135], v[82:83], -v[98:99]
	v_add_f64 v[142:143], v[80:81], -v[96:97]
	s_mov_b32 s21, 0x3fddbe06
	v_add_f64 v[124:125], v[124:125], v[132:133]
	v_add_f64 v[132:133], v[160:161], v[144:145]
	;; [unrolled: 1-line block ×3, first 2 shown]
	v_mul_f64 v[144:145], v[148:149], s[20:21]
	v_mul_f64 v[146:147], v[150:151], s[20:21]
	v_add_f64 v[80:81], v[80:81], v[96:97]
	v_add_f64 v[82:83], v[82:83], v[98:99]
	v_mul_f64 v[96:97], v[134:135], s[38:39]
	v_mul_f64 v[98:99], v[142:143], s[38:39]
	v_fma_f64 v[128:129], v[76:77], s[4:5], v[128:129]
	v_fma_f64 v[138:139], v[78:79], s[4:5], -v[138:139]
	v_fma_f64 v[148:149], v[76:77], s[16:17], -v[144:145]
	v_fma_f64 v[150:151], v[78:79], s[16:17], v[146:147]
	v_fma_f64 v[76:77], v[76:77], s[16:17], v[144:145]
	v_fma_f64 v[78:79], v[78:79], s[16:17], -v[146:147]
	v_fma_f64 v[144:145], v[80:81], s[4:5], -v[96:97]
	v_fma_f64 v[146:147], v[82:83], s[4:5], v[98:99]
	v_fma_f64 v[96:97], v[80:81], s[4:5], v[96:97]
	v_fma_f64 v[98:99], v[82:83], s[4:5], -v[98:99]
	v_add_f64 v[112:113], v[128:129], v[112:113]
	v_add_f64 v[128:129], v[148:149], v[152:153]
	v_add_f64 v[72:73], v[76:77], v[72:73]
	v_add_f64 v[74:75], v[78:79], v[74:75]
	v_add_f64 v[76:77], v[144:145], v[92:93]
	v_add_f64 v[78:79], v[146:147], v[94:95]
	v_mul_f64 v[92:93], v[134:135], s[36:37]
	v_mul_f64 v[144:145], v[134:135], s[42:43]
	;; [unrolled: 1-line block ×4, first 2 shown]
	v_add_f64 v[96:97], v[96:97], v[100:101]
	v_add_f64 v[98:99], v[98:99], v[102:103]
	v_add_f64 v[114:115], v[138:139], v[114:115]
	v_add_f64 v[138:139], v[150:151], v[154:155]
	v_fma_f64 v[148:149], v[80:81], s[34:35], -v[92:93]
	v_fma_f64 v[92:93], v[80:81], s[34:35], v[92:93]
	v_fma_f64 v[100:101], v[80:81], s[18:19], -v[144:145]
	v_fma_f64 v[102:103], v[82:83], s[18:19], v[146:147]
	v_fma_f64 v[150:151], v[82:83], s[34:35], v[94:95]
	v_fma_f64 v[94:95], v[82:83], s[34:35], -v[94:95]
	s_barrier
	v_add_f64 v[104:105], v[148:149], v[104:105]
	v_add_f64 v[92:93], v[92:93], v[108:109]
	v_mul_f64 v[108:109], v[134:135], s[20:21]
	v_add_f64 v[100:101], v[100:101], v[116:117]
	v_add_f64 v[102:103], v[102:103], v[118:119]
	v_fma_f64 v[116:117], v[80:81], s[18:19], v[144:145]
	v_fma_f64 v[118:119], v[82:83], s[18:19], -v[146:147]
	v_mul_f64 v[144:145], v[134:135], s[28:29]
	v_mul_f64 v[146:147], v[142:143], s[28:29]
	v_add_f64 v[94:95], v[94:95], v[110:111]
	v_mul_f64 v[110:111], v[142:143], s[20:21]
	v_fma_f64 v[148:149], v[80:81], s[16:17], -v[108:109]
	v_fma_f64 v[108:109], v[80:81], s[16:17], v[108:109]
	v_add_f64 v[116:117], v[116:117], v[120:121]
	v_add_f64 v[118:119], v[118:119], v[122:123]
	v_fma_f64 v[120:121], v[80:81], s[6:7], -v[144:145]
	v_fma_f64 v[122:123], v[82:83], s[6:7], v[146:147]
	v_add_f64 v[106:107], v[150:151], v[106:107]
	v_fma_f64 v[150:151], v[82:83], s[16:17], v[110:111]
	v_fma_f64 v[110:111], v[82:83], s[16:17], -v[110:111]
	v_add_f64 v[108:109], v[108:109], v[124:125]
	v_mul_f64 v[124:125], v[134:135], s[26:27]
	v_fma_f64 v[134:135], v[80:81], s[6:7], v[144:145]
	v_add_f64 v[120:121], v[120:121], v[132:133]
	v_add_f64 v[122:123], v[122:123], v[130:131]
	v_add_f64 v[130:131], v[86:87], -v[90:91]
	v_add_f64 v[132:133], v[84:85], -v[88:89]
	v_add_f64 v[110:111], v[110:111], v[126:127]
	v_mul_f64 v[126:127], v[142:143], s[26:27]
	v_fma_f64 v[144:145], v[80:81], s[24:25], -v[124:125]
	v_add_f64 v[84:85], v[84:85], v[88:89]
	v_add_f64 v[86:87], v[86:87], v[90:91]
	v_fma_f64 v[142:143], v[82:83], s[6:7], -v[146:147]
	v_mul_f64 v[88:89], v[130:131], s[22:23]
	v_mul_f64 v[90:91], v[132:133], s[22:23]
	v_fma_f64 v[80:81], v[80:81], s[24:25], v[124:125]
	v_fma_f64 v[146:147], v[82:83], s[24:25], v[126:127]
	v_fma_f64 v[82:83], v[82:83], s[24:25], -v[126:127]
	v_add_f64 v[112:113], v[134:135], v[112:113]
	v_add_f64 v[124:125], v[144:145], v[128:129]
	;; [unrolled: 1-line block ×3, first 2 shown]
	v_fma_f64 v[128:129], v[84:85], s[18:19], -v[88:89]
	v_fma_f64 v[134:135], v[86:87], s[18:19], v[90:91]
	v_add_f64 v[72:73], v[80:81], v[72:73]
	v_mul_f64 v[80:81], v[130:131], s[40:41]
	v_add_f64 v[74:75], v[82:83], v[74:75]
	v_mul_f64 v[82:83], v[132:133], s[40:41]
	v_fma_f64 v[88:89], v[84:85], s[18:19], v[88:89]
	v_fma_f64 v[90:91], v[86:87], s[18:19], -v[90:91]
	v_add_f64 v[76:77], v[128:129], v[76:77]
	v_add_f64 v[78:79], v[134:135], v[78:79]
	v_mul_f64 v[128:129], v[130:131], s[20:21]
	v_mul_f64 v[134:135], v[132:133], s[20:21]
	v_add_f64 v[126:127], v[146:147], v[138:139]
	v_fma_f64 v[138:139], v[84:85], s[24:25], -v[80:81]
	v_fma_f64 v[142:143], v[86:87], s[24:25], v[82:83]
	v_add_f64 v[88:89], v[88:89], v[96:97]
	v_add_f64 v[90:91], v[90:91], v[98:99]
	v_fma_f64 v[80:81], v[84:85], s[24:25], v[80:81]
	v_fma_f64 v[82:83], v[86:87], s[24:25], -v[82:83]
	v_fma_f64 v[96:97], v[84:85], s[16:17], -v[128:129]
	v_fma_f64 v[98:99], v[86:87], s[16:17], v[134:135]
	s_mov_b32 s41, 0x3fcea1e5
	s_mov_b32 s40, s36
	v_add_f64 v[104:105], v[138:139], v[104:105]
	v_mul_f64 v[138:139], v[130:131], s[38:39]
	v_add_f64 v[80:81], v[80:81], v[92:93]
	v_add_f64 v[82:83], v[82:83], v[94:95]
	v_add_f64 v[92:93], v[96:97], v[100:101]
	v_add_f64 v[94:95], v[98:99], v[102:103]
	v_fma_f64 v[96:97], v[84:85], s[16:17], v[128:129]
	v_fma_f64 v[98:99], v[86:87], s[16:17], -v[134:135]
	v_mul_f64 v[128:129], v[130:131], s[40:41]
	v_mul_f64 v[134:135], v[132:133], s[40:41]
	v_add_f64 v[106:107], v[142:143], v[106:107]
	v_mul_f64 v[142:143], v[132:133], s[38:39]
	s_mov_b32 s39, 0x3fea55e2
	s_mov_b32 s38, s28
	v_add_f64 v[96:97], v[96:97], v[116:117]
	v_add_f64 v[98:99], v[98:99], v[118:119]
	v_fma_f64 v[116:117], v[84:85], s[34:35], -v[128:129]
	v_fma_f64 v[118:119], v[86:87], s[34:35], v[134:135]
	v_add_f64 v[136:137], v[148:149], v[136:137]
	v_fma_f64 v[100:101], v[84:85], s[4:5], -v[138:139]
	v_fma_f64 v[138:139], v[84:85], s[4:5], v[138:139]
	v_mul_f64 v[130:131], v[130:131], s[38:39]
	v_mul_f64 v[132:133], v[132:133], s[38:39]
	v_fma_f64 v[128:129], v[84:85], s[34:35], v[128:129]
	v_add_f64 v[116:117], v[116:117], v[120:121]
	v_add_f64 v[118:119], v[118:119], v[122:123]
	v_add_f64 v[120:121], v[66:67], -v[70:71]
	v_add_f64 v[122:123], v[64:65], -v[68:69]
	v_add_f64 v[64:65], v[64:65], v[68:69]
	v_add_f64 v[66:67], v[66:67], v[70:71]
	v_fma_f64 v[102:103], v[86:87], s[4:5], v[142:143]
	v_fma_f64 v[142:143], v[86:87], s[4:5], -v[142:143]
	v_add_f64 v[100:101], v[100:101], v[136:137]
	v_add_f64 v[108:109], v[138:139], v[108:109]
	v_mul_f64 v[68:69], v[120:121], s[26:27]
	v_mul_f64 v[70:71], v[122:123], s[26:27]
	v_fma_f64 v[134:135], v[86:87], s[34:35], -v[134:135]
	v_fma_f64 v[136:137], v[84:85], s[6:7], -v[130:131]
	v_fma_f64 v[138:139], v[86:87], s[6:7], v[132:133]
	v_fma_f64 v[84:85], v[84:85], s[6:7], v[130:131]
	v_fma_f64 v[86:87], v[86:87], s[6:7], -v[132:133]
	v_add_f64 v[112:113], v[128:129], v[112:113]
	v_fma_f64 v[128:129], v[64:65], s[24:25], -v[68:69]
	v_fma_f64 v[130:131], v[66:67], s[24:25], v[70:71]
	v_fma_f64 v[68:69], v[64:65], s[24:25], v[68:69]
	v_fma_f64 v[70:71], v[66:67], s[24:25], -v[70:71]
	v_add_f64 v[114:115], v[134:135], v[114:115]
	v_add_f64 v[72:73], v[84:85], v[72:73]
	;; [unrolled: 1-line block ×3, first 2 shown]
	v_mul_f64 v[84:85], v[120:121], s[30:31]
	v_mul_f64 v[86:87], v[122:123], s[30:31]
	v_add_f64 v[76:77], v[128:129], v[76:77]
	v_add_f64 v[78:79], v[130:131], v[78:79]
	v_mul_f64 v[128:129], v[120:121], s[28:29]
	v_mul_f64 v[130:131], v[122:123], s[28:29]
	v_add_f64 v[68:69], v[68:69], v[88:89]
	v_add_f64 v[70:71], v[70:71], v[90:91]
	v_fma_f64 v[132:133], v[64:65], s[4:5], -v[84:85]
	v_fma_f64 v[134:135], v[66:67], s[4:5], v[86:87]
	v_fma_f64 v[84:85], v[64:65], s[4:5], v[84:85]
	v_fma_f64 v[86:87], v[66:67], s[4:5], -v[86:87]
	v_fma_f64 v[88:89], v[64:65], s[6:7], -v[128:129]
	v_fma_f64 v[90:91], v[66:67], s[6:7], v[130:131]
	v_add_f64 v[140:141], v[150:151], v[140:141]
	v_add_f64 v[110:111], v[142:143], v[110:111]
	;; [unrolled: 1-line block ×4, first 2 shown]
	v_mul_f64 v[132:133], v[120:121], s[40:41]
	v_mul_f64 v[134:135], v[122:123], s[40:41]
	v_add_f64 v[80:81], v[84:85], v[80:81]
	v_add_f64 v[82:83], v[86:87], v[82:83]
	;; [unrolled: 1-line block ×4, first 2 shown]
	v_fma_f64 v[88:89], v[64:65], s[6:7], v[128:129]
	v_fma_f64 v[90:91], v[66:67], s[6:7], -v[130:131]
	v_mul_f64 v[128:129], v[120:121], s[20:21]
	v_mul_f64 v[130:131], v[122:123], s[20:21]
	v_add_f64 v[102:103], v[102:103], v[140:141]
	v_fma_f64 v[92:93], v[64:65], s[34:35], -v[132:133]
	v_fma_f64 v[94:95], v[66:67], s[34:35], v[134:135]
	v_fma_f64 v[132:133], v[64:65], s[34:35], v[132:133]
	v_fma_f64 v[134:135], v[66:67], s[34:35], -v[134:135]
	v_add_f64 v[88:89], v[88:89], v[96:97]
	v_add_f64 v[90:91], v[90:91], v[98:99]
	v_fma_f64 v[96:97], v[64:65], s[16:17], -v[128:129]
	v_fma_f64 v[98:99], v[66:67], s[16:17], v[130:131]
	v_add_f64 v[92:93], v[92:93], v[100:101]
	v_add_f64 v[94:95], v[94:95], v[102:103]
	;; [unrolled: 1-line block ×4, first 2 shown]
	v_fma_f64 v[100:101], v[64:65], s[16:17], v[128:129]
	v_fma_f64 v[102:103], v[66:67], s[16:17], -v[130:131]
	v_mul_f64 v[108:109], v[120:121], s[22:23]
	v_mul_f64 v[110:111], v[122:123], s[22:23]
	v_add_f64 v[96:97], v[96:97], v[116:117]
	v_add_f64 v[98:99], v[98:99], v[118:119]
	v_add_f64 v[116:117], v[58:59], -v[62:63]
	v_add_f64 v[118:119], v[56:57], -v[60:61]
	v_add_f64 v[124:125], v[136:137], v[124:125]
	v_add_f64 v[126:127], v[138:139], v[126:127]
	;; [unrolled: 1-line block ×4, first 2 shown]
	v_fma_f64 v[100:101], v[64:65], s[18:19], -v[108:109]
	v_fma_f64 v[102:103], v[66:67], s[18:19], v[110:111]
	v_add_f64 v[128:129], v[56:57], v[60:61]
	v_add_f64 v[130:131], v[58:59], v[62:63]
	v_mul_f64 v[56:57], v[116:117], s[36:37]
	v_mul_f64 v[58:59], v[118:119], s[36:37]
	v_fma_f64 v[60:61], v[64:65], s[18:19], v[108:109]
	v_fma_f64 v[62:63], v[66:67], s[18:19], -v[110:111]
	v_add_f64 v[124:125], v[100:101], v[124:125]
	v_add_f64 v[126:127], v[102:103], v[126:127]
	v_mul_f64 v[64:65], v[116:117], s[20:21]
	v_mul_f64 v[66:67], v[118:119], s[20:21]
	v_fma_f64 v[100:101], v[128:129], s[34:35], -v[56:57]
	v_fma_f64 v[102:103], v[130:131], s[34:35], v[58:59]
	v_add_f64 v[136:137], v[60:61], v[72:73]
	v_add_f64 v[138:139], v[62:63], v[74:75]
	v_fma_f64 v[60:61], v[128:129], s[34:35], v[56:57]
	v_fma_f64 v[62:63], v[130:131], s[34:35], -v[58:59]
	v_fma_f64 v[72:73], v[128:129], s[16:17], -v[64:65]
	v_fma_f64 v[74:75], v[130:131], s[16:17], v[66:67]
	v_add_f64 v[56:57], v[100:101], v[76:77]
	v_add_f64 v[58:59], v[102:103], v[78:79]
	v_mul_f64 v[76:77], v[116:117], s[26:27]
	v_mul_f64 v[78:79], v[118:119], s[26:27]
	v_add_f64 v[108:109], v[60:61], v[68:69]
	v_add_f64 v[110:111], v[62:63], v[70:71]
	;; [unrolled: 1-line block ×4, first 2 shown]
	v_fma_f64 v[64:65], v[128:129], s[16:17], v[64:65]
	v_fma_f64 v[66:67], v[130:131], s[16:17], -v[66:67]
	v_fma_f64 v[68:69], v[128:129], s[24:25], -v[76:77]
	v_fma_f64 v[70:71], v[130:131], s[24:25], v[78:79]
	v_fma_f64 v[76:77], v[128:129], s[24:25], v[76:77]
	v_fma_f64 v[78:79], v[130:131], s[24:25], -v[78:79]
	v_mul_f64 v[72:73], v[116:117], s[38:39]
	v_mul_f64 v[74:75], v[118:119], s[38:39]
	v_add_f64 v[112:113], v[64:65], v[80:81]
	v_add_f64 v[114:115], v[66:67], v[82:83]
	;; [unrolled: 1-line block ×6, first 2 shown]
	v_mul_f64 v[76:77], v[116:117], s[22:23]
	v_mul_f64 v[78:79], v[118:119], s[22:23]
	v_fma_f64 v[68:69], v[128:129], s[6:7], -v[72:73]
	v_fma_f64 v[70:71], v[130:131], s[6:7], v[74:75]
	v_mul_f64 v[80:81], v[116:117], s[30:31]
	v_mul_f64 v[82:83], v[118:119], s[30:31]
	v_fma_f64 v[72:73], v[128:129], s[6:7], v[72:73]
	v_fma_f64 v[74:75], v[130:131], s[6:7], -v[74:75]
	v_fma_f64 v[84:85], v[128:129], s[18:19], -v[76:77]
	v_fma_f64 v[86:87], v[130:131], s[18:19], v[78:79]
	v_add_f64 v[68:69], v[68:69], v[92:93]
	v_add_f64 v[70:71], v[70:71], v[94:95]
	v_fma_f64 v[92:93], v[128:129], s[4:5], -v[80:81]
	v_fma_f64 v[94:95], v[130:131], s[4:5], v[82:83]
	v_fma_f64 v[88:89], v[128:129], s[18:19], v[76:77]
	v_fma_f64 v[90:91], v[130:131], s[18:19], -v[78:79]
	v_fma_f64 v[104:105], v[128:129], s[4:5], v[80:81]
	v_fma_f64 v[106:107], v[130:131], s[4:5], -v[82:83]
	v_add_f64 v[76:77], v[84:85], v[96:97]
	v_add_f64 v[78:79], v[86:87], v[98:99]
	;; [unrolled: 1-line block ×10, first 2 shown]
	ds_write_b128 v222, v[52:55]
	ds_write_b128 v222, v[56:59] offset:16
	ds_write_b128 v222, v[60:63] offset:32
	;; [unrolled: 1-line block ×12, first 2 shown]
	s_waitcnt lgkmcnt(0)
	s_barrier
	ds_read_b128 v[116:119], v218
	ds_read_b128 v[104:107], v218 offset:1040
	ds_read_b128 v[136:139], v218 offset:2704
	;; [unrolled: 1-line block ×9, first 2 shown]
                                        ; implicit-def: $vgpr152_vgpr153
                                        ; implicit-def: $vgpr156_vgpr157
	s_and_saveexec_b64 s[4:5], vcc
	s_cbranch_execz .LBB0_3
; %bb.2:
	ds_read_b128 v[100:103], v218 offset:2080
	ds_read_b128 v[112:115], v218 offset:4784
	;; [unrolled: 1-line block ×5, first 2 shown]
.LBB0_3:
	s_or_b64 exec, exec, s[4:5]
	s_movk_i32 s4, 0x4f
	v_mul_lo_u16_sdwa v0, v217, s4 dst_sel:DWORD dst_unused:UNUSED_PAD src0_sel:BYTE_0 src1_sel:DWORD
	v_lshrrev_b16_e32 v160, 10, v0
	v_mul_lo_u16_e32 v0, 13, v160
	v_sub_u16_e32 v161, v217, v0
	v_mov_b32_e32 v0, 6
	v_lshlrev_b32_sdwa v1, v0, v161 dst_sel:DWORD dst_unused:UNUSED_PAD src0_sel:DWORD src1_sel:BYTE_0
	global_load_dwordx4 v[72:75], v1, s[14:15] offset:48
	global_load_dwordx4 v[76:79], v1, s[14:15] offset:32
	;; [unrolled: 1-line block ×3, first 2 shown]
	global_load_dwordx4 v[84:87], v1, s[14:15]
	v_add_u16_e32 v1, 0x41, v217
	v_mul_lo_u16_sdwa v2, v1, s4 dst_sel:DWORD dst_unused:UNUSED_PAD src0_sel:BYTE_0 src1_sel:DWORD
	v_lshrrev_b16_e32 v162, 10, v2
	v_mul_lo_u16_e32 v2, 13, v162
	v_sub_u16_e32 v163, v1, v2
	v_lshlrev_b32_sdwa v1, v0, v163 dst_sel:DWORD dst_unused:UNUSED_PAD src0_sel:DWORD src1_sel:BYTE_0
	global_load_dwordx4 v[88:91], v1, s[14:15] offset:16
	global_load_dwordx4 v[96:99], v1, s[14:15]
	global_load_dwordx4 v[68:71], v1, s[14:15] offset:48
	global_load_dwordx4 v[92:95], v1, s[14:15] offset:32
	v_add_u16_e32 v1, 0x82, v217
	v_mul_lo_u16_sdwa v2, v1, s4 dst_sel:DWORD dst_unused:UNUSED_PAD src0_sel:BYTE_0 src1_sel:DWORD
	v_lshrrev_b16_e32 v255, 10, v2
	v_mul_lo_u16_e32 v2, 13, v255
	v_sub_u16_e32 v1, v1, v2
	buffer_store_dword v1, off, s[48:51], 0 offset:48 ; 4-byte Folded Spill
	v_lshlrev_b32_sdwa v0, v0, v1 dst_sel:DWORD dst_unused:UNUSED_PAD src0_sel:DWORD src1_sel:BYTE_0
	global_load_dwordx4 v[52:55], v0, s[14:15]
	global_load_dwordx4 v[64:67], v0, s[14:15] offset:16
	global_load_dwordx4 v[60:63], v0, s[14:15] offset:32
	;; [unrolled: 1-line block ×3, first 2 shown]
	s_mov_b32 s16, 0x134454ff
	s_mov_b32 s17, 0x3fee6f0e
	;; [unrolled: 1-line block ×10, first 2 shown]
	v_mul_u32_u24_e32 v0, 0x41, v160
	v_add_u32_sdwa v0, v0, v161 dst_sel:DWORD dst_unused:UNUSED_PAD src0_sel:DWORD src1_sel:BYTE_0
	v_lshl_add_u32 v223, v0, 4, v219
	v_mul_u32_u24_e32 v0, 0x41, v162
	v_add_u32_sdwa v0, v0, v163 dst_sel:DWORD dst_unused:UNUSED_PAD src0_sel:DWORD src1_sel:BYTE_0
	v_lshl_add_u32 v224, v0, 4, v219
	s_waitcnt vmcnt(0) lgkmcnt(0)
	s_barrier
	v_mul_f64 v[176:177], v[150:151], v[74:75]
	v_mul_f64 v[172:173], v[146:147], v[78:79]
	;; [unrolled: 1-line block ×11, first 2 shown]
	v_fma_f64 v[136:137], v[136:137], v[84:85], -v[164:165]
	v_fma_f64 v[140:141], v[140:141], v[80:81], -v[168:169]
	;; [unrolled: 1-line block ×4, first 2 shown]
	v_mul_f64 v[198:199], v[112:113], v[54:55]
	v_mul_f64 v[180:181], v[122:123], v[98:99]
	;; [unrolled: 1-line block ×8, first 2 shown]
	v_fma_f64 v[138:139], v[138:139], v[84:85], v[166:167]
	v_fma_f64 v[142:143], v[142:143], v[80:81], v[170:171]
	;; [unrolled: 1-line block ×8, first 2 shown]
	v_add_f64 v[154:155], v[140:141], v[144:145]
	v_add_f64 v[168:169], v[136:137], v[148:149]
	v_mul_f64 v[184:185], v[126:127], v[90:91]
	v_mul_f64 v[188:189], v[130:131], v[94:95]
	v_mul_f64 v[200:201], v[110:111], v[66:67]
	v_mul_f64 v[209:210], v[158:159], v[58:59]
	v_fma_f64 v[150:151], v[150:151], v[72:73], v[178:179]
	v_fma_f64 v[120:121], v[120:121], v[96:97], -v[180:181]
	v_fma_f64 v[180:181], v[132:133], v[68:69], -v[192:193]
	v_fma_f64 v[132:133], v[112:113], v[52:53], -v[196:197]
	v_fma_f64 v[126:127], v[110:111], v[64:65], v[202:203]
	v_fma_f64 v[112:113], v[152:153], v[60:61], -v[204:205]
	v_fma_f64 v[110:111], v[158:159], v[56:57], v[211:212]
	v_add_f64 v[152:153], v[116:117], v[136:137]
	v_add_f64 v[158:159], v[142:143], -v[146:147]
	v_add_f64 v[164:165], v[136:137], -v[140:141]
	;; [unrolled: 1-line block ×5, first 2 shown]
	v_add_f64 v[174:175], v[118:119], v[138:139]
	v_add_f64 v[176:177], v[142:143], v[146:147]
	v_fma_f64 v[154:155], v[154:155], -0.5, v[116:117]
	v_fma_f64 v[116:117], v[168:169], -0.5, v[116:117]
	v_mul_f64 v[190:191], v[128:129], v[94:95]
	v_fma_f64 v[178:179], v[124:125], v[88:89], -v[184:185]
	v_fma_f64 v[128:129], v[128:129], v[92:93], -v[188:189]
	v_fma_f64 v[124:125], v[108:109], v[64:65], -v[200:201]
	v_fma_f64 v[108:109], v[156:157], v[56:57], -v[209:210]
	v_add_f64 v[156:157], v[138:139], -v[150:151]
	v_add_f64 v[136:137], v[136:137], -v[148:149]
	;; [unrolled: 1-line block ×4, first 2 shown]
	v_add_f64 v[192:193], v[138:139], v[150:151]
	v_add_f64 v[138:139], v[142:143], -v[138:139]
	v_add_f64 v[140:141], v[152:153], v[140:141]
	v_add_f64 v[164:165], v[164:165], v[166:167]
	;; [unrolled: 1-line block ×4, first 2 shown]
	v_fma_f64 v[152:153], v[176:177], -0.5, v[118:119]
	v_fma_f64 v[170:171], v[158:159], s[18:19], v[116:117]
	v_fma_f64 v[116:117], v[158:159], s[16:17], v[116:117]
	;; [unrolled: 1-line block ×3, first 2 shown]
	v_add_f64 v[190:191], v[150:151], -v[146:147]
	v_add_f64 v[196:197], v[104:105], v[120:121]
	v_fma_f64 v[168:169], v[156:157], s[16:17], v[154:155]
	v_fma_f64 v[154:155], v[156:157], s[18:19], v[154:155]
	v_fma_f64 v[118:119], v[192:193], -0.5, v[118:119]
	v_add_f64 v[140:141], v[140:141], v[144:145]
	v_add_f64 v[142:143], v[142:143], v[146:147]
	v_fma_f64 v[144:145], v[136:137], s[18:19], v[152:153]
	v_fma_f64 v[116:117], v[156:157], s[20:21], v[116:117]
	v_add_f64 v[194:195], v[146:147], -v[150:151]
	v_fma_f64 v[146:147], v[158:159], s[4:5], v[168:169]
	v_fma_f64 v[158:159], v[158:159], s[20:21], v[154:155]
	v_fma_f64 v[168:169], v[156:157], s[4:5], v[170:171]
	v_fma_f64 v[170:171], v[136:137], s[16:17], v[152:153]
	v_fma_f64 v[174:175], v[184:185], s[16:17], v[118:119]
	v_add_f64 v[152:153], v[140:141], v[148:149]
	v_add_f64 v[154:155], v[142:143], v[150:151]
	v_fma_f64 v[172:173], v[166:167], s[6:7], v[116:117]
	v_fma_f64 v[116:117], v[184:185], s[20:21], v[144:145]
	;; [unrolled: 1-line block ×3, first 2 shown]
	v_add_f64 v[140:141], v[178:179], v[128:129]
	v_add_f64 v[142:143], v[188:189], v[190:191]
	;; [unrolled: 1-line block ×4, first 2 shown]
	v_fma_f64 v[156:157], v[164:165], s[6:7], v[146:147]
	v_fma_f64 v[164:165], v[164:165], s[6:7], v[158:159]
	;; [unrolled: 1-line block ×4, first 2 shown]
	v_add_f64 v[138:139], v[138:139], v[194:195]
	v_fma_f64 v[118:119], v[136:137], s[4:5], v[118:119]
	v_fma_f64 v[136:137], v[140:141], -0.5, v[104:105]
	v_add_f64 v[140:141], v[122:123], -v[186:187]
	v_add_f64 v[144:145], v[144:145], v[128:129]
	v_fma_f64 v[158:159], v[142:143], s[6:7], v[116:117]
	v_add_f64 v[116:117], v[182:183], -v[130:131]
	v_fma_f64 v[104:105], v[150:151], -0.5, v[104:105]
	v_fma_f64 v[168:169], v[166:167], s[6:7], v[168:169]
	v_fma_f64 v[166:167], v[142:143], s[6:7], v[146:147]
	;; [unrolled: 1-line block ×5, first 2 shown]
	v_add_f64 v[176:177], v[144:145], v[180:181]
	v_add_f64 v[138:139], v[120:121], -v[178:179]
	v_add_f64 v[142:143], v[180:181], -v[128:129]
	v_fma_f64 v[136:137], v[140:141], s[18:19], v[136:137]
	v_fma_f64 v[144:145], v[116:117], s[18:19], v[104:105]
	v_add_f64 v[146:147], v[178:179], -v[120:121]
	v_add_f64 v[148:149], v[128:129], -v[180:181]
	v_fma_f64 v[104:105], v[116:117], s[16:17], v[104:105]
	v_add_f64 v[150:151], v[106:107], v[122:123]
	v_add_f64 v[184:185], v[182:183], v[130:131]
	v_fma_f64 v[118:119], v[116:117], s[4:5], v[118:119]
	v_add_f64 v[138:139], v[138:139], v[142:143]
	v_fma_f64 v[116:117], v[116:117], s[20:21], v[136:137]
	v_fma_f64 v[136:137], v[140:141], s[4:5], v[144:145]
	v_add_f64 v[142:143], v[146:147], v[148:149]
	v_add_f64 v[144:145], v[122:123], v[186:187]
	v_fma_f64 v[104:105], v[140:141], s[20:21], v[104:105]
	v_add_f64 v[140:141], v[150:151], v[182:183]
	v_fma_f64 v[146:147], v[184:185], -0.5, v[106:107]
	v_add_f64 v[120:121], v[120:121], -v[180:181]
	v_fma_f64 v[180:181], v[138:139], s[6:7], v[118:119]
	v_fma_f64 v[184:185], v[138:139], s[6:7], v[116:117]
	v_add_f64 v[116:117], v[178:179], -v[128:129]
	v_fma_f64 v[106:107], v[144:145], -0.5, v[106:107]
	v_fma_f64 v[188:189], v[142:143], s[6:7], v[136:137]
	v_fma_f64 v[192:193], v[142:143], s[6:7], v[104:105]
	v_add_f64 v[104:105], v[140:141], v[130:131]
	v_fma_f64 v[118:119], v[120:121], s[18:19], v[146:147]
	v_add_f64 v[128:129], v[122:123], -v[182:183]
	v_add_f64 v[136:137], v[186:187], -v[130:131]
	v_fma_f64 v[138:139], v[120:121], s[16:17], v[146:147]
	v_add_f64 v[122:123], v[182:183], -v[122:123]
	v_add_f64 v[130:131], v[130:131], -v[186:187]
	v_fma_f64 v[140:141], v[116:117], s[16:17], v[106:107]
	v_add_f64 v[142:143], v[124:125], v[112:113]
	v_add_f64 v[178:179], v[104:105], v[186:187]
	v_fma_f64 v[182:183], v[116:117], s[20:21], v[118:119]
	v_fma_f64 v[118:119], v[116:117], s[18:19], v[106:107]
	;; [unrolled: 1-line block ×3, first 2 shown]
	v_add_f64 v[116:117], v[132:133], v[108:109]
	v_add_f64 v[122:123], v[122:123], v[130:131]
	;; [unrolled: 1-line block ×5, first 2 shown]
	v_fma_f64 v[190:191], v[120:121], s[20:21], v[140:141]
	v_fma_f64 v[104:105], v[142:143], -0.5, v[100:101]
	v_add_f64 v[106:107], v[134:135], -v[110:111]
	v_fma_f64 v[120:121], v[120:121], s[4:5], v[118:119]
	v_add_f64 v[148:149], v[126:127], -v[114:115]
	v_fma_f64 v[116:117], v[116:117], -0.5, v[100:101]
	v_fma_f64 v[118:119], v[130:131], -0.5, v[102:103]
	v_add_f64 v[136:137], v[132:133], -v[108:109]
	v_add_f64 v[140:141], v[124:125], -v[112:113]
	v_fma_f64 v[138:139], v[138:139], -0.5, v[102:103]
	v_add_f64 v[142:143], v[132:133], -v[124:125]
	v_add_f64 v[144:145], v[108:109], -v[112:113]
	v_fma_f64 v[146:147], v[106:107], s[18:19], v[104:105]
	v_add_f64 v[130:131], v[124:125], -v[132:133]
	v_add_f64 v[194:195], v[112:113], -v[108:109]
	v_fma_f64 v[196:197], v[148:149], s[16:17], v[116:117]
	;; [unrolled: 3-line block ×4, first 2 shown]
	v_add_f64 v[150:151], v[142:143], v[144:145]
	v_fma_f64 v[211:212], v[148:149], s[20:21], v[146:147]
	v_add_f64 v[146:147], v[130:131], v[194:195]
	v_fma_f64 v[130:131], v[106:107], s[20:21], v[196:197]
	;; [unrolled: 2-line block ×4, first 2 shown]
	v_fma_f64 v[182:183], v[128:129], s[6:7], v[182:183]
	v_fma_f64 v[186:187], v[128:129], s[6:7], v[186:187]
	;; [unrolled: 1-line block ×8, first 2 shown]
	ds_write_b128 v223, v[152:155]
	ds_write_b128 v223, v[156:159] offset:208
	ds_write_b128 v223, v[168:171] offset:416
	;; [unrolled: 1-line block ×4, first 2 shown]
	ds_write_b128 v224, v[176:179]
	ds_write_b128 v224, v[180:183] offset:208
	ds_write_b128 v224, v[188:191] offset:416
	;; [unrolled: 1-line block ×4, first 2 shown]
	s_and_saveexec_b64 s[18:19], vcc
	s_cbranch_execz .LBB0_5
; %bb.4:
	buffer_load_dword v1, off, s[48:51], 0 offset:48 ; 4-byte Folded Reload
	v_add_f64 v[102:103], v[102:103], v[134:135]
	v_add_f64 v[100:101], v[100:101], v[132:133]
	v_mul_f64 v[152:153], v[106:107], s[16:17]
	v_mul_f64 v[158:159], v[136:137], s[16:17]
	;; [unrolled: 1-line block ×6, first 2 shown]
	v_add_f64 v[102:103], v[102:103], v[126:127]
	v_add_f64 v[100:101], v[100:101], v[124:125]
	;; [unrolled: 1-line block ×3, first 2 shown]
	v_add_f64 v[118:119], v[118:119], -v[158:159]
	v_mul_f64 v[106:107], v[106:107], s[4:5]
	v_mul_f64 v[136:137], v[136:137], s[4:5]
	v_add_f64 v[138:139], v[156:157], v[138:139]
	v_add_f64 v[116:117], v[116:117], -v[148:149]
	v_add_f64 v[114:115], v[102:103], v[114:115]
	v_add_f64 v[100:101], v[100:101], v[112:113]
	v_mul_f64 v[150:151], v[150:151], s[6:7]
	v_mul_f64 v[124:125], v[142:143], s[6:7]
	v_add_f64 v[118:119], v[118:119], -v[134:135]
	v_add_f64 v[104:105], v[154:155], v[104:105]
	v_mul_f64 v[132:133], v[146:147], s[6:7]
	v_mul_f64 v[126:127], v[144:145], s[6:7]
	v_add_f64 v[136:137], v[138:139], -v[136:137]
	v_add_f64 v[112:113], v[106:107], v[116:117]
	v_add_f64 v[110:111], v[114:115], v[110:111]
	;; [unrolled: 1-line block ×5, first 2 shown]
	v_mul_u32_u24_e32 v0, 0x41, v255
	v_add_f64 v[102:103], v[126:127], v[136:137]
	v_add_f64 v[100:101], v[132:133], v[112:113]
	s_waitcnt vmcnt(0)
	v_add_u32_sdwa v0, v0, v1 dst_sel:DWORD dst_unused:UNUSED_PAD src0_sel:DWORD src1_sel:BYTE_0
	v_lshl_add_u32 v0, v0, 4, v219
	ds_write_b128 v0, v[108:111]
	ds_write_b128 v0, v[104:107] offset:208
	ds_write_b128 v0, v[100:103] offset:416
	;; [unrolled: 1-line block ×4, first 2 shown]
.LBB0_5:
	s_or_b64 exec, exec, s[18:19]
	v_mov_b32_e32 v0, s13
	v_addc_co_u32_e64 v226, s[0:1], 0, v0, s[0:1]
	v_mov_b32_e32 v109, s15
	s_movk_i32 s0, 0xc0
	v_mov_b32_e32 v108, s14
	v_mad_u64_u32 v[184:185], s[0:1], v217, s0, v[108:109]
	s_waitcnt lgkmcnt(0)
	s_barrier
	ds_read_b128 v[160:163], v218
	ds_read_b128 v[100:103], v218 offset:1040
	ds_read_b128 v[104:107], v218 offset:2080
	;; [unrolled: 1-line block ×12, first 2 shown]
	global_load_dwordx4 v[108:111], v[184:185], off offset:880
	global_load_dwordx4 v[116:119], v[184:185], off offset:864
	;; [unrolled: 1-line block ×4, first 2 shown]
	s_mov_b32 s20, 0x4267c47c
	s_mov_b32 s21, 0xbfddbe06
	;; [unrolled: 1-line block ×36, first 2 shown]
	s_movk_i32 s0, 0x34d0
	s_waitcnt vmcnt(0) lgkmcnt(11)
	v_mul_f64 v[148:149], v[102:103], v[146:147]
	v_fma_f64 v[213:214], v[100:101], v[144:145], -v[148:149]
	v_mul_f64 v[100:101], v[100:101], v[146:147]
	v_fma_f64 v[215:216], v[102:103], v[144:145], v[100:101]
	s_waitcnt lgkmcnt(10)
	v_mul_f64 v[100:101], v[106:107], v[134:135]
	v_fma_f64 v[196:197], v[104:105], v[132:133], -v[100:101]
	v_mul_f64 v[100:101], v[104:105], v[134:135]
	v_fma_f64 v[198:199], v[106:107], v[132:133], v[100:101]
	s_waitcnt lgkmcnt(9)
	;; [unrolled: 5-line block ×3, first 2 shown]
	v_mul_f64 v[100:101], v[126:127], v[110:111]
	v_fma_f64 v[182:183], v[124:125], v[108:109], -v[100:101]
	v_mul_f64 v[100:101], v[124:125], v[110:111]
	v_fma_f64 v[180:181], v[126:127], v[108:109], v[100:101]
	global_load_dwordx4 v[100:103], v[184:185], off offset:944
	global_load_dwordx4 v[104:107], v[184:185], off offset:928
	;; [unrolled: 1-line block ×4, first 2 shown]
	s_waitcnt vmcnt(0) lgkmcnt(7)
	v_mul_f64 v[124:125], v[138:139], v[150:151]
	v_fma_f64 v[176:177], v[136:137], v[148:149], -v[124:125]
	v_mul_f64 v[124:125], v[136:137], v[150:151]
	v_fma_f64 v[172:173], v[138:139], v[148:149], v[124:125]
	s_waitcnt lgkmcnt(6)
	v_mul_f64 v[124:125], v[142:143], v[114:115]
	v_fma_f64 v[168:169], v[140:141], v[112:113], -v[124:125]
	v_mul_f64 v[124:125], v[140:141], v[114:115]
	v_fma_f64 v[164:165], v[142:143], v[112:113], v[124:125]
	s_waitcnt lgkmcnt(5)
	v_mul_f64 v[124:125], v[154:155], v[106:107]
	v_fma_f64 v[170:171], v[152:153], v[104:105], -v[124:125]
	v_mul_f64 v[124:125], v[152:153], v[106:107]
	v_fma_f64 v[166:167], v[154:155], v[104:105], v[124:125]
	s_waitcnt lgkmcnt(4)
	v_mul_f64 v[124:125], v[158:159], v[102:103]
	v_fma_f64 v[178:179], v[156:157], v[100:101], -v[124:125]
	v_mul_f64 v[124:125], v[156:157], v[102:103]
	v_fma_f64 v[174:175], v[158:159], v[100:101], v[124:125]
	global_load_dwordx4 v[140:143], v[184:185], off offset:1008
	global_load_dwordx4 v[124:127], v[184:185], off offset:992
	;; [unrolled: 1-line block ×4, first 2 shown]
	v_add_f64 v[158:159], v[162:163], v[215:216]
	v_add_f64 v[158:159], v[158:159], v[198:199]
	;; [unrolled: 1-line block ×8, first 2 shown]
	s_waitcnt vmcnt(0) lgkmcnt(3)
	v_mul_f64 v[156:157], v[194:195], v[154:155]
	v_fma_f64 v[186:187], v[192:193], v[152:153], -v[156:157]
	v_mul_f64 v[156:157], v[192:193], v[154:155]
	v_fma_f64 v[184:185], v[194:195], v[152:153], v[156:157]
	s_waitcnt lgkmcnt(2)
	v_mul_f64 v[156:157], v[202:203], v[138:139]
	v_add_f64 v[158:159], v[158:159], v[184:185]
	v_fma_f64 v[194:195], v[200:201], v[136:137], -v[156:157]
	v_mul_f64 v[156:157], v[200:201], v[138:139]
	v_fma_f64 v[192:193], v[202:203], v[136:137], v[156:157]
	s_waitcnt lgkmcnt(1)
	v_mul_f64 v[156:157], v[206:207], v[126:127]
	v_add_f64 v[158:159], v[158:159], v[192:193]
	;; [unrolled: 6-line block ×3, first 2 shown]
	v_fma_f64 v[204:205], v[209:210], v[140:141], -v[156:157]
	v_mul_f64 v[156:157], v[209:210], v[142:143]
	v_add_f64 v[227:228], v[213:214], v[204:205]
	v_fma_f64 v[206:207], v[211:212], v[140:141], v[156:157]
	v_add_f64 v[156:157], v[160:161], v[213:214]
	v_add_f64 v[231:232], v[213:214], -v[204:205]
	v_add_f64 v[233:234], v[215:216], -v[206:207]
	v_add_f64 v[156:157], v[156:157], v[196:197]
	v_add_f64 v[158:159], v[158:159], v[206:207]
	;; [unrolled: 1-line block ×3, first 2 shown]
	v_mul_f64 v[6:7], v[231:232], s[24:25]
	v_add_f64 v[156:157], v[156:157], v[190:191]
	v_add_f64 v[156:157], v[156:157], v[182:183]
	;; [unrolled: 1-line block ×10, first 2 shown]
	v_mul_f64 v[204:205], v[233:234], s[20:21]
	v_fma_f64 v[206:207], v[227:228], s[22:23], -v[204:205]
	v_fma_f64 v[204:205], v[227:228], s[22:23], v[204:205]
	v_add_f64 v[235:236], v[160:161], v[206:207]
	v_mul_f64 v[206:207], v[231:232], s[20:21]
	v_add_f64 v[239:240], v[160:161], v[204:205]
	v_fma_f64 v[204:205], v[229:230], s[22:23], -v[206:207]
	v_fma_f64 v[209:210], v[229:230], s[22:23], v[206:207]
	v_add_f64 v[241:242], v[162:163], v[204:205]
	v_mul_f64 v[204:205], v[233:234], s[14:15]
	v_add_f64 v[237:238], v[162:163], v[209:210]
	;; [unrolled: 5-line block ×7, first 2 shown]
	v_mul_f64 v[231:232], v[231:232], s[28:29]
	v_fma_f64 v[209:210], v[229:230], s[18:19], v[206:207]
	v_fma_f64 v[2:3], v[229:230], s[18:19], -v[206:207]
	v_mul_f64 v[206:207], v[233:234], s[24:25]
	v_fma_f64 v[8:9], v[229:230], s[30:31], v[231:232]
	v_fma_f64 v[10:11], v[229:230], s[30:31], -v[231:232]
	v_add_f64 v[220:221], v[162:163], v[209:210]
	v_add_f64 v[2:3], v[162:163], v[2:3]
	v_fma_f64 v[204:205], v[227:228], s[26:27], -v[206:207]
	v_fma_f64 v[206:207], v[227:228], s[26:27], v[206:207]
	v_add_f64 v[8:9], v[162:163], v[8:9]
	v_add_f64 v[10:11], v[162:163], v[10:11]
	;; [unrolled: 1-line block ×3, first 2 shown]
	v_fma_f64 v[204:205], v[229:230], s[26:27], v[6:7]
	v_fma_f64 v[6:7], v[229:230], s[26:27], -v[6:7]
	v_add_f64 v[206:207], v[160:161], v[206:207]
	v_add_f64 v[204:205], v[162:163], v[204:205]
	;; [unrolled: 1-line block ×3, first 2 shown]
	v_mul_f64 v[6:7], v[233:234], s[28:29]
	v_add_f64 v[162:163], v[198:199], v[202:203]
	v_add_f64 v[198:199], v[198:199], -v[202:203]
	v_fma_f64 v[233:234], v[227:228], s[30:31], -v[6:7]
	v_fma_f64 v[6:7], v[227:228], s[30:31], v[6:7]
	v_mul_f64 v[231:232], v[198:199], s[16:17]
	v_add_f64 v[233:234], v[160:161], v[233:234]
	v_add_f64 v[6:7], v[160:161], v[6:7]
	;; [unrolled: 1-line block ×3, first 2 shown]
	v_add_f64 v[196:197], v[196:197], -v[200:201]
	v_mul_f64 v[200:201], v[198:199], s[14:15]
	v_mul_f64 v[227:228], v[196:197], s[14:15]
	v_fma_f64 v[202:203], v[160:161], s[12:13], -v[200:201]
	v_fma_f64 v[200:201], v[160:161], s[12:13], v[200:201]
	v_fma_f64 v[229:230], v[162:163], s[12:13], v[227:228]
	v_fma_f64 v[227:228], v[162:163], s[12:13], -v[227:228]
	v_add_f64 v[202:203], v[202:203], v[235:236]
	v_add_f64 v[200:201], v[200:201], v[239:240]
	v_fma_f64 v[235:236], v[160:161], s[18:19], -v[231:232]
	v_fma_f64 v[231:232], v[160:161], s[18:19], v[231:232]
	v_add_f64 v[229:230], v[229:230], v[237:238]
	v_mul_f64 v[237:238], v[196:197], s[16:17]
	v_add_f64 v[227:228], v[227:228], v[241:242]
	v_mul_f64 v[241:242], v[198:199], s[28:29]
	v_add_f64 v[235:236], v[235:236], v[243:244]
	v_add_f64 v[231:232], v[231:232], v[247:248]
	v_fma_f64 v[239:240], v[162:163], s[18:19], v[237:238]
	v_fma_f64 v[237:238], v[162:163], s[18:19], -v[237:238]
	v_fma_f64 v[243:244], v[160:161], s[30:31], -v[241:242]
	v_fma_f64 v[241:242], v[160:161], s[30:31], v[241:242]
	v_add_f64 v[239:240], v[239:240], v[245:246]
	v_mul_f64 v[245:246], v[196:197], s[28:29]
	v_add_f64 v[237:238], v[237:238], v[249:250]
	v_add_f64 v[213:214], v[241:242], v[213:214]
	;; [unrolled: 1-line block ×3, first 2 shown]
	v_fma_f64 v[241:242], v[162:163], s[30:31], -v[245:246]
	v_fma_f64 v[247:248], v[162:163], s[30:31], v[245:246]
	v_add_f64 v[215:216], v[241:242], v[215:216]
	v_mul_f64 v[241:242], v[198:199], s[36:37]
	v_add_f64 v[211:212], v[247:248], v[211:212]
	v_mul_f64 v[247:248], v[196:197], s[36:37]
	v_fma_f64 v[245:246], v[160:161], s[26:27], -v[241:242]
	v_fma_f64 v[241:242], v[160:161], s[26:27], v[241:242]
	v_fma_f64 v[249:250], v[162:163], s[26:27], v[247:248]
	v_add_f64 v[245:246], v[245:246], v[253:254]
	v_add_f64 v[0:1], v[241:242], v[0:1]
	v_fma_f64 v[241:242], v[162:163], s[26:27], -v[247:248]
	v_add_f64 v[220:221], v[249:250], v[220:221]
	v_add_f64 v[2:3], v[241:242], v[2:3]
	v_mul_f64 v[241:242], v[198:199], s[34:35]
	v_mul_f64 v[198:199], v[198:199], s[38:39]
	v_fma_f64 v[247:248], v[160:161], s[6:7], -v[241:242]
	v_fma_f64 v[241:242], v[160:161], s[6:7], v[241:242]
	v_add_f64 v[4:5], v[247:248], v[4:5]
	v_mul_f64 v[247:248], v[196:197], s[34:35]
	v_add_f64 v[206:207], v[241:242], v[206:207]
	v_mul_f64 v[196:197], v[196:197], s[38:39]
	v_fma_f64 v[241:242], v[162:163], s[6:7], -v[247:248]
	v_fma_f64 v[249:250], v[162:163], s[6:7], v[247:248]
	v_add_f64 v[209:210], v[241:242], v[209:210]
	v_fma_f64 v[241:242], v[160:161], s[22:23], -v[198:199]
	v_fma_f64 v[160:161], v[160:161], s[22:23], v[198:199]
	v_add_f64 v[204:205], v[249:250], v[204:205]
	v_add_f64 v[233:234], v[241:242], v[233:234]
	v_fma_f64 v[241:242], v[162:163], s[22:23], v[196:197]
	v_add_f64 v[6:7], v[160:161], v[6:7]
	v_fma_f64 v[160:161], v[162:163], s[22:23], -v[196:197]
	v_add_f64 v[162:163], v[188:189], v[192:193]
	v_add_f64 v[188:189], v[188:189], -v[192:193]
	v_add_f64 v[8:9], v[241:242], v[8:9]
	v_add_f64 v[10:11], v[160:161], v[10:11]
	;; [unrolled: 1-line block ×3, first 2 shown]
	v_add_f64 v[190:191], v[190:191], -v[194:195]
	v_mul_f64 v[192:193], v[188:189], s[4:5]
	v_mul_f64 v[196:197], v[190:191], s[4:5]
	v_fma_f64 v[194:195], v[160:161], s[6:7], -v[192:193]
	v_fma_f64 v[192:193], v[160:161], s[6:7], v[192:193]
	v_fma_f64 v[198:199], v[162:163], s[6:7], v[196:197]
	v_fma_f64 v[196:197], v[162:163], s[6:7], -v[196:197]
	v_add_f64 v[192:193], v[192:193], v[200:201]
	v_mul_f64 v[200:201], v[188:189], s[28:29]
	v_add_f64 v[194:195], v[194:195], v[202:203]
	v_add_f64 v[198:199], v[198:199], v[229:230]
	;; [unrolled: 1-line block ×3, first 2 shown]
	v_mul_f64 v[227:228], v[190:191], s[28:29]
	v_fma_f64 v[202:203], v[160:161], s[30:31], -v[200:201]
	v_fma_f64 v[200:201], v[160:161], s[30:31], v[200:201]
	v_fma_f64 v[229:230], v[162:163], s[30:31], v[227:228]
	v_fma_f64 v[227:228], v[162:163], s[30:31], -v[227:228]
	v_add_f64 v[200:201], v[200:201], v[231:232]
	v_mul_f64 v[231:232], v[188:189], s[40:41]
	v_add_f64 v[202:203], v[202:203], v[235:236]
	v_add_f64 v[229:230], v[229:230], v[239:240]
	;; [unrolled: 1-line block ×3, first 2 shown]
	v_mul_f64 v[237:238], v[190:191], s[40:41]
	v_fma_f64 v[235:236], v[160:161], s[18:19], -v[231:232]
	v_fma_f64 v[231:232], v[160:161], s[18:19], v[231:232]
	v_fma_f64 v[239:240], v[162:163], s[18:19], v[237:238]
	v_add_f64 v[235:236], v[235:236], v[243:244]
	v_add_f64 v[213:214], v[231:232], v[213:214]
	v_fma_f64 v[231:232], v[162:163], s[18:19], -v[237:238]
	v_add_f64 v[211:212], v[239:240], v[211:212]
	v_mul_f64 v[239:240], v[190:191], s[38:39]
	v_add_f64 v[215:216], v[231:232], v[215:216]
	v_mul_f64 v[231:232], v[188:189], s[38:39]
	v_fma_f64 v[241:242], v[162:163], s[22:23], v[239:240]
	v_fma_f64 v[237:238], v[160:161], s[22:23], -v[231:232]
	v_fma_f64 v[231:232], v[160:161], s[22:23], v[231:232]
	v_add_f64 v[220:221], v[241:242], v[220:221]
	v_add_f64 v[237:238], v[237:238], v[245:246]
	;; [unrolled: 1-line block ×3, first 2 shown]
	v_fma_f64 v[231:232], v[162:163], s[22:23], -v[239:240]
	v_add_f64 v[2:3], v[231:232], v[2:3]
	v_mul_f64 v[231:232], v[188:189], s[14:15]
	v_mul_f64 v[188:189], v[188:189], s[24:25]
	v_fma_f64 v[239:240], v[160:161], s[12:13], -v[231:232]
	v_fma_f64 v[231:232], v[160:161], s[12:13], v[231:232]
	v_add_f64 v[4:5], v[239:240], v[4:5]
	v_mul_f64 v[239:240], v[190:191], s[14:15]
	v_add_f64 v[206:207], v[231:232], v[206:207]
	v_mul_f64 v[190:191], v[190:191], s[24:25]
	v_fma_f64 v[231:232], v[162:163], s[12:13], -v[239:240]
	v_fma_f64 v[241:242], v[162:163], s[12:13], v[239:240]
	v_add_f64 v[209:210], v[231:232], v[209:210]
	v_fma_f64 v[231:232], v[160:161], s[26:27], -v[188:189]
	v_fma_f64 v[160:161], v[160:161], s[26:27], v[188:189]
	v_add_f64 v[204:205], v[241:242], v[204:205]
	v_add_f64 v[231:232], v[231:232], v[233:234]
	v_fma_f64 v[233:234], v[162:163], s[26:27], v[190:191]
	v_add_f64 v[6:7], v[160:161], v[6:7]
	v_fma_f64 v[160:161], v[162:163], s[26:27], -v[190:191]
	v_add_f64 v[162:163], v[180:181], v[184:185]
	v_add_f64 v[180:181], v[180:181], -v[184:185]
	v_add_f64 v[8:9], v[233:234], v[8:9]
	v_add_f64 v[10:11], v[160:161], v[10:11]
	;; [unrolled: 1-line block ×3, first 2 shown]
	v_add_f64 v[182:183], v[182:183], -v[186:187]
	v_mul_f64 v[184:185], v[180:181], s[16:17]
	v_mul_f64 v[188:189], v[182:183], s[16:17]
	v_fma_f64 v[186:187], v[160:161], s[18:19], -v[184:185]
	v_fma_f64 v[184:185], v[160:161], s[18:19], v[184:185]
	v_fma_f64 v[190:191], v[162:163], s[18:19], v[188:189]
	v_fma_f64 v[188:189], v[162:163], s[18:19], -v[188:189]
	v_add_f64 v[184:185], v[184:185], v[192:193]
	v_mul_f64 v[192:193], v[180:181], s[36:37]
	v_add_f64 v[186:187], v[186:187], v[194:195]
	v_add_f64 v[190:191], v[190:191], v[198:199]
	;; [unrolled: 1-line block ×3, first 2 shown]
	v_mul_f64 v[196:197], v[182:183], s[36:37]
	v_fma_f64 v[194:195], v[160:161], s[26:27], -v[192:193]
	v_fma_f64 v[192:193], v[160:161], s[26:27], v[192:193]
	v_fma_f64 v[198:199], v[162:163], s[26:27], v[196:197]
	v_fma_f64 v[196:197], v[162:163], s[26:27], -v[196:197]
	v_add_f64 v[192:193], v[192:193], v[200:201]
	v_mul_f64 v[200:201], v[180:181], s[38:39]
	v_add_f64 v[194:195], v[194:195], v[202:203]
	v_add_f64 v[198:199], v[198:199], v[229:230]
	;; [unrolled: 1-line block ×3, first 2 shown]
	v_mul_f64 v[227:228], v[182:183], s[38:39]
	v_fma_f64 v[202:203], v[160:161], s[22:23], -v[200:201]
	v_fma_f64 v[200:201], v[160:161], s[22:23], v[200:201]
	v_fma_f64 v[229:230], v[162:163], s[22:23], v[227:228]
	v_add_f64 v[202:203], v[202:203], v[235:236]
	v_add_f64 v[200:201], v[200:201], v[213:214]
	v_fma_f64 v[213:214], v[162:163], s[22:23], -v[227:228]
	v_add_f64 v[211:212], v[229:230], v[211:212]
	v_mul_f64 v[229:230], v[182:183], s[4:5]
	v_add_f64 v[213:214], v[213:214], v[215:216]
	v_mul_f64 v[215:216], v[180:181], s[4:5]
	v_fma_f64 v[233:234], v[162:163], s[6:7], v[229:230]
	v_fma_f64 v[227:228], v[160:161], s[6:7], -v[215:216]
	v_fma_f64 v[215:216], v[160:161], s[6:7], v[215:216]
	v_add_f64 v[220:221], v[233:234], v[220:221]
	v_add_f64 v[227:228], v[227:228], v[237:238]
	;; [unrolled: 1-line block ×3, first 2 shown]
	v_fma_f64 v[215:216], v[162:163], s[6:7], -v[229:230]
	v_add_f64 v[2:3], v[215:216], v[2:3]
	v_mul_f64 v[215:216], v[180:181], s[44:45]
	v_mul_f64 v[180:181], v[180:181], s[42:43]
	v_fma_f64 v[229:230], v[160:161], s[30:31], -v[215:216]
	v_fma_f64 v[215:216], v[160:161], s[30:31], v[215:216]
	v_add_f64 v[4:5], v[229:230], v[4:5]
	v_mul_f64 v[229:230], v[182:183], s[44:45]
	v_add_f64 v[206:207], v[215:216], v[206:207]
	v_mul_f64 v[182:183], v[182:183], s[42:43]
	v_fma_f64 v[215:216], v[162:163], s[30:31], -v[229:230]
	v_fma_f64 v[233:234], v[162:163], s[30:31], v[229:230]
	v_fma_f64 v[229:230], v[162:163], s[12:13], v[182:183]
	v_add_f64 v[209:210], v[215:216], v[209:210]
	v_fma_f64 v[215:216], v[160:161], s[12:13], -v[180:181]
	v_fma_f64 v[160:161], v[160:161], s[12:13], v[180:181]
	v_add_f64 v[8:9], v[229:230], v[8:9]
	v_add_f64 v[204:205], v[233:234], v[204:205]
	;; [unrolled: 1-line block ×4, first 2 shown]
	v_fma_f64 v[160:161], v[162:163], s[12:13], -v[182:183]
	v_add_f64 v[162:163], v[172:173], v[174:175]
	v_add_f64 v[172:173], v[172:173], -v[174:175]
	v_add_f64 v[10:11], v[160:161], v[10:11]
	v_add_f64 v[160:161], v[176:177], v[178:179]
	v_add_f64 v[176:177], v[176:177], -v[178:179]
	v_mul_f64 v[174:175], v[172:173], s[24:25]
	v_mul_f64 v[180:181], v[176:177], s[24:25]
	v_fma_f64 v[178:179], v[160:161], s[26:27], -v[174:175]
	v_fma_f64 v[174:175], v[160:161], s[26:27], v[174:175]
	v_fma_f64 v[182:183], v[162:163], s[26:27], v[180:181]
	v_fma_f64 v[180:181], v[162:163], s[26:27], -v[180:181]
	v_add_f64 v[174:175], v[174:175], v[184:185]
	v_mul_f64 v[184:185], v[172:173], s[34:35]
	v_add_f64 v[178:179], v[178:179], v[186:187]
	v_add_f64 v[182:183], v[182:183], v[190:191]
	;; [unrolled: 1-line block ×3, first 2 shown]
	v_mul_f64 v[188:189], v[176:177], s[34:35]
	v_fma_f64 v[186:187], v[160:161], s[6:7], -v[184:185]
	v_fma_f64 v[184:185], v[160:161], s[6:7], v[184:185]
	v_fma_f64 v[190:191], v[162:163], s[6:7], v[188:189]
	v_fma_f64 v[188:189], v[162:163], s[6:7], -v[188:189]
	v_add_f64 v[184:185], v[184:185], v[192:193]
	v_mul_f64 v[192:193], v[172:173], s[14:15]
	v_add_f64 v[186:187], v[186:187], v[194:195]
	v_add_f64 v[190:191], v[190:191], v[198:199]
	;; [unrolled: 1-line block ×3, first 2 shown]
	v_mul_f64 v[196:197], v[176:177], s[14:15]
	v_fma_f64 v[194:195], v[160:161], s[12:13], -v[192:193]
	v_fma_f64 v[192:193], v[160:161], s[12:13], v[192:193]
	v_fma_f64 v[198:199], v[162:163], s[12:13], v[196:197]
	v_add_f64 v[194:195], v[194:195], v[202:203]
	v_add_f64 v[192:193], v[192:193], v[200:201]
	v_mul_f64 v[200:201], v[172:173], s[44:45]
	v_fma_f64 v[196:197], v[162:163], s[12:13], -v[196:197]
	v_add_f64 v[198:199], v[198:199], v[211:212]
	v_mul_f64 v[211:212], v[176:177], s[44:45]
	v_fma_f64 v[202:203], v[160:161], s[30:31], -v[200:201]
	v_fma_f64 v[200:201], v[160:161], s[30:31], v[200:201]
	v_add_f64 v[196:197], v[196:197], v[213:214]
	v_fma_f64 v[213:214], v[162:163], s[30:31], v[211:212]
	v_add_f64 v[202:203], v[202:203], v[227:228]
	v_add_f64 v[0:1], v[200:201], v[0:1]
	v_fma_f64 v[200:201], v[162:163], s[30:31], -v[211:212]
	v_add_f64 v[227:228], v[164:165], -v[166:167]
	v_add_f64 v[213:214], v[213:214], v[220:221]
	v_add_f64 v[2:3], v[200:201], v[2:3]
	v_mul_f64 v[200:201], v[172:173], s[38:39]
	v_mul_f64 v[172:173], v[172:173], s[16:17]
	v_fma_f64 v[211:212], v[160:161], s[22:23], -v[200:201]
	v_fma_f64 v[200:201], v[160:161], s[22:23], v[200:201]
	v_add_f64 v[4:5], v[211:212], v[4:5]
	v_mul_f64 v[211:212], v[176:177], s[38:39]
	v_add_f64 v[200:201], v[200:201], v[206:207]
	v_mul_f64 v[176:177], v[176:177], s[16:17]
	v_fma_f64 v[206:207], v[162:163], s[22:23], -v[211:212]
	v_fma_f64 v[220:221], v[162:163], s[22:23], v[211:212]
	v_fma_f64 v[211:212], v[162:163], s[18:19], v[176:177]
	v_add_f64 v[206:207], v[206:207], v[209:210]
	v_fma_f64 v[209:210], v[160:161], s[18:19], -v[172:173]
	v_fma_f64 v[160:161], v[160:161], s[18:19], v[172:173]
	v_add_f64 v[8:9], v[211:212], v[8:9]
	v_add_f64 v[211:212], v[168:169], v[170:171]
	;; [unrolled: 1-line block ×3, first 2 shown]
	v_add_f64 v[220:221], v[168:169], -v[170:171]
	v_mul_f64 v[172:173], v[227:228], s[38:39]
	v_add_f64 v[209:210], v[209:210], v[215:216]
	v_add_f64 v[6:7], v[160:161], v[6:7]
	v_fma_f64 v[160:161], v[162:163], s[18:19], -v[176:177]
	v_add_f64 v[215:216], v[164:165], v[166:167]
	v_mul_f64 v[164:165], v[227:228], s[28:29]
	v_mul_f64 v[166:167], v[220:221], s[28:29]
	v_fma_f64 v[168:169], v[211:212], s[22:23], -v[172:173]
	v_fma_f64 v[172:173], v[211:212], s[22:23], v[172:173]
	v_add_f64 v[10:11], v[160:161], v[10:11]
	v_fma_f64 v[160:161], v[211:212], s[30:31], -v[164:165]
	v_fma_f64 v[164:165], v[211:212], s[30:31], v[164:165]
	v_fma_f64 v[162:163], v[215:216], s[30:31], v[166:167]
	v_add_f64 v[172:173], v[172:173], v[184:185]
	v_fma_f64 v[166:167], v[215:216], s[30:31], -v[166:167]
	v_add_f64 v[168:169], v[168:169], v[186:187]
	v_add_f64 v[160:161], v[160:161], v[178:179]
	;; [unrolled: 1-line block ×3, first 2 shown]
	v_mul_f64 v[174:175], v[220:221], s[38:39]
	v_add_f64 v[162:163], v[162:163], v[182:183]
	v_add_f64 v[166:167], v[166:167], v[180:181]
	v_mul_f64 v[180:181], v[227:228], s[24:25]
	v_mul_f64 v[182:183], v[220:221], s[24:25]
	v_fma_f64 v[170:171], v[215:216], s[22:23], v[174:175]
	v_fma_f64 v[174:175], v[215:216], s[22:23], -v[174:175]
	v_fma_f64 v[176:177], v[211:212], s[26:27], -v[180:181]
	v_fma_f64 v[180:181], v[211:212], s[26:27], v[180:181]
	v_fma_f64 v[178:179], v[215:216], s[26:27], v[182:183]
	v_fma_f64 v[182:183], v[215:216], s[26:27], -v[182:183]
	v_add_f64 v[170:171], v[170:171], v[190:191]
	v_add_f64 v[174:175], v[174:175], v[188:189]
	v_mul_f64 v[188:189], v[227:228], s[42:43]
	v_mul_f64 v[190:191], v[220:221], s[42:43]
	v_add_f64 v[180:181], v[180:181], v[192:193]
	v_add_f64 v[178:179], v[178:179], v[198:199]
	;; [unrolled: 1-line block ×4, first 2 shown]
	v_fma_f64 v[184:185], v[211:212], s[12:13], -v[188:189]
	v_fma_f64 v[188:189], v[211:212], s[12:13], v[188:189]
	v_fma_f64 v[186:187], v[215:216], s[12:13], v[190:191]
	v_add_f64 v[184:185], v[184:185], v[202:203]
	v_add_f64 v[188:189], v[188:189], v[0:1]
	v_fma_f64 v[0:1], v[215:216], s[12:13], -v[190:191]
	v_add_f64 v[186:187], v[186:187], v[213:214]
	v_add_f64 v[190:191], v[0:1], v[2:3]
	v_mul_f64 v[0:1], v[227:228], s[16:17]
	v_fma_f64 v[2:3], v[211:212], s[18:19], -v[0:1]
	v_fma_f64 v[0:1], v[211:212], s[18:19], v[0:1]
	v_add_f64 v[192:193], v[2:3], v[4:5]
	v_mul_f64 v[2:3], v[220:221], s[16:17]
	v_add_f64 v[196:197], v[0:1], v[200:201]
	v_fma_f64 v[0:1], v[215:216], s[18:19], -v[2:3]
	v_fma_f64 v[4:5], v[215:216], s[18:19], v[2:3]
	v_add_f64 v[198:199], v[0:1], v[206:207]
	v_mul_f64 v[0:1], v[227:228], s[34:35]
	v_add_f64 v[194:195], v[4:5], v[204:205]
	;; [unrolled: 5-line block ×3, first 2 shown]
	v_fma_f64 v[0:1], v[215:216], s[6:7], -v[2:3]
	v_fma_f64 v[4:5], v[215:216], s[6:7], v[2:3]
	v_add_f64 v[206:207], v[0:1], v[10:11]
	v_add_co_u32_e64 v0, s[0:1], s0, v225
	v_addc_co_u32_e64 v1, s[0:1], 0, v226, s[0:1]
	s_movk_i32 s0, 0x3000
	v_add_f64 v[202:203], v[4:5], v[8:9]
	v_add_co_u32_e64 v2, s[0:1], s0, v225
	v_addc_co_u32_e64 v3, s[0:1], 0, v226, s[0:1]
	ds_write_b128 v218, v[156:159]
	ds_write_b128 v218, v[160:163] offset:1040
	ds_write_b128 v218, v[168:171] offset:2080
	;; [unrolled: 1-line block ×12, first 2 shown]
	s_waitcnt lgkmcnt(0)
	s_barrier
	global_load_dwordx4 v[160:163], v[2:3], off offset:1232
	ds_read_b128 v[156:159], v218
	s_movk_i32 s0, 0x4000
	s_waitcnt vmcnt(0) lgkmcnt(0)
	v_mul_f64 v[2:3], v[158:159], v[162:163]
	v_fma_f64 v[164:165], v[156:157], v[160:161], -v[2:3]
	v_mul_f64 v[2:3], v[156:157], v[162:163]
	v_fma_f64 v[166:167], v[158:159], v[160:161], v[2:3]
	global_load_dwordx4 v[160:163], v[0:1], off offset:1040
	ds_read_b128 v[156:159], v218 offset:1040
	ds_write_b128 v218, v[164:167]
	s_waitcnt vmcnt(0) lgkmcnt(1)
	v_mul_f64 v[2:3], v[158:159], v[162:163]
	v_fma_f64 v[164:165], v[156:157], v[160:161], -v[2:3]
	v_mul_f64 v[2:3], v[156:157], v[162:163]
	v_fma_f64 v[166:167], v[158:159], v[160:161], v[2:3]
	global_load_dwordx4 v[160:163], v[0:1], off offset:2080
	ds_read_b128 v[156:159], v218 offset:2080
	ds_write_b128 v218, v[164:167] offset:1040
	s_waitcnt vmcnt(0) lgkmcnt(1)
	v_mul_f64 v[2:3], v[158:159], v[162:163]
	v_fma_f64 v[164:165], v[156:157], v[160:161], -v[2:3]
	v_mul_f64 v[2:3], v[156:157], v[162:163]
	v_fma_f64 v[166:167], v[158:159], v[160:161], v[2:3]
	global_load_dwordx4 v[160:163], v[0:1], off offset:3120
	ds_read_b128 v[156:159], v218 offset:3120
	ds_write_b128 v218, v[164:167] offset:2080
	s_waitcnt vmcnt(0) lgkmcnt(1)
	v_mul_f64 v[0:1], v[158:159], v[162:163]
	v_fma_f64 v[164:165], v[156:157], v[160:161], -v[0:1]
	v_mul_f64 v[0:1], v[156:157], v[162:163]
	v_fma_f64 v[166:167], v[158:159], v[160:161], v[0:1]
	v_add_co_u32_e64 v0, s[0:1], s0, v225
	v_addc_co_u32_e64 v1, s[0:1], 0, v226, s[0:1]
	global_load_dwordx4 v[160:163], v[0:1], off offset:1296
	ds_read_b128 v[156:159], v218 offset:4160
	s_movk_i32 s0, 0x5000
	ds_write_b128 v218, v[164:167] offset:3120
	s_waitcnt vmcnt(0) lgkmcnt(1)
	v_mul_f64 v[2:3], v[158:159], v[162:163]
	v_fma_f64 v[164:165], v[156:157], v[160:161], -v[2:3]
	v_mul_f64 v[2:3], v[156:157], v[162:163]
	v_fma_f64 v[166:167], v[158:159], v[160:161], v[2:3]
	global_load_dwordx4 v[160:163], v[0:1], off offset:2336
	ds_read_b128 v[156:159], v218 offset:5200
	ds_write_b128 v218, v[164:167] offset:4160
	s_waitcnt vmcnt(0) lgkmcnt(1)
	v_mul_f64 v[2:3], v[158:159], v[162:163]
	v_fma_f64 v[164:165], v[156:157], v[160:161], -v[2:3]
	v_mul_f64 v[2:3], v[156:157], v[162:163]
	v_fma_f64 v[166:167], v[158:159], v[160:161], v[2:3]
	global_load_dwordx4 v[160:163], v[0:1], off offset:3376
	ds_read_b128 v[156:159], v218 offset:6240
	ds_write_b128 v218, v[164:167] offset:5200
	s_waitcnt vmcnt(0) lgkmcnt(1)
	v_mul_f64 v[0:1], v[158:159], v[162:163]
	v_fma_f64 v[164:165], v[156:157], v[160:161], -v[0:1]
	v_mul_f64 v[0:1], v[156:157], v[162:163]
	v_fma_f64 v[166:167], v[158:159], v[160:161], v[0:1]
	v_add_co_u32_e64 v0, s[0:1], s0, v225
	v_addc_co_u32_e64 v1, s[0:1], 0, v226, s[0:1]
	global_load_dwordx4 v[160:163], v[0:1], off offset:320
	ds_read_b128 v[156:159], v218 offset:7280
	s_movk_i32 s0, 0x6000
	ds_write_b128 v218, v[164:167] offset:6240
	s_waitcnt vmcnt(0) lgkmcnt(1)
	v_mul_f64 v[2:3], v[158:159], v[162:163]
	v_fma_f64 v[164:165], v[156:157], v[160:161], -v[2:3]
	v_mul_f64 v[2:3], v[156:157], v[162:163]
	v_fma_f64 v[166:167], v[158:159], v[160:161], v[2:3]
	global_load_dwordx4 v[160:163], v[0:1], off offset:1360
	ds_read_b128 v[156:159], v218 offset:8320
	ds_write_b128 v218, v[164:167] offset:7280
	s_waitcnt vmcnt(0) lgkmcnt(1)
	v_mul_f64 v[2:3], v[158:159], v[162:163]
	v_fma_f64 v[164:165], v[156:157], v[160:161], -v[2:3]
	v_mul_f64 v[2:3], v[156:157], v[162:163]
	v_fma_f64 v[166:167], v[158:159], v[160:161], v[2:3]
	global_load_dwordx4 v[160:163], v[0:1], off offset:2400
	ds_read_b128 v[156:159], v218 offset:9360
	;; [unrolled: 8-line block ×3, first 2 shown]
	ds_write_b128 v218, v[164:167] offset:9360
	s_waitcnt vmcnt(0) lgkmcnt(1)
	v_mul_f64 v[0:1], v[158:159], v[162:163]
	v_fma_f64 v[164:165], v[156:157], v[160:161], -v[0:1]
	v_mul_f64 v[0:1], v[156:157], v[162:163]
	v_fma_f64 v[166:167], v[158:159], v[160:161], v[0:1]
	v_add_co_u32_e64 v0, s[0:1], s0, v225
	v_addc_co_u32_e64 v1, s[0:1], 0, v226, s[0:1]
	global_load_dwordx4 v[160:163], v[0:1], off offset:384
	ds_read_b128 v[156:159], v218 offset:11440
	ds_write_b128 v218, v[164:167] offset:10400
	s_waitcnt vmcnt(0) lgkmcnt(1)
	v_mul_f64 v[2:3], v[158:159], v[162:163]
	v_fma_f64 v[164:165], v[156:157], v[160:161], -v[2:3]
	v_mul_f64 v[2:3], v[156:157], v[162:163]
	v_fma_f64 v[166:167], v[158:159], v[160:161], v[2:3]
	global_load_dwordx4 v[160:163], v[0:1], off offset:1424
	ds_read_b128 v[156:159], v218 offset:12480
	ds_write_b128 v218, v[164:167] offset:11440
	s_waitcnt vmcnt(0) lgkmcnt(1)
	v_mul_f64 v[0:1], v[158:159], v[162:163]
	v_fma_f64 v[164:165], v[156:157], v[160:161], -v[0:1]
	v_mul_f64 v[0:1], v[156:157], v[162:163]
	v_fma_f64 v[166:167], v[158:159], v[160:161], v[0:1]
	ds_write_b128 v218, v[164:167] offset:12480
	s_waitcnt lgkmcnt(0)
	s_barrier
	ds_read_b128 v[192:195], v218
	ds_read_b128 v[196:199], v218 offset:1040
	ds_read_b128 v[200:203], v218 offset:2080
	;; [unrolled: 1-line block ×12, first 2 shown]
	s_waitcnt lgkmcnt(11)
	v_add_f64 v[2:3], v[194:195], v[198:199]
	v_add_f64 v[0:1], v[192:193], v[196:197]
	s_waitcnt lgkmcnt(0)
	s_barrier
	v_add_f64 v[4:5], v[196:197], -v[209:210]
	v_add_f64 v[6:7], v[198:199], -v[211:212]
	v_add_f64 v[2:3], v[2:3], v[202:203]
	v_add_f64 v[0:1], v[0:1], v[200:201]
	v_mul_f64 v[8:9], v[6:7], s[20:21]
	v_mul_f64 v[220:221], v[6:7], s[4:5]
	v_mul_f64 v[231:232], v[6:7], s[16:17]
	v_add_f64 v[2:3], v[2:3], v[186:187]
	v_add_f64 v[0:1], v[0:1], v[184:185]
	v_mul_f64 v[239:240], v[6:7], s[24:25]
	v_add_f64 v[2:3], v[2:3], v[178:179]
	v_add_f64 v[0:1], v[0:1], v[176:177]
	;; [unrolled: 1-line block ×20, first 2 shown]
	v_mul_f64 v[209:210], v[6:7], s[14:15]
	v_mul_f64 v[6:7], v[6:7], s[28:29]
	;; [unrolled: 1-line block ×8, first 2 shown]
	v_fma_f64 v[10:11], v[0:1], s[22:23], v[8:9]
	v_fma_f64 v[8:9], v[0:1], s[22:23], -v[8:9]
	v_fma_f64 v[198:199], v[4:5], s[38:39], v[196:197]
	v_fma_f64 v[196:197], v[4:5], s[20:21], v[196:197]
	;; [unrolled: 1-line block ×12, first 2 shown]
	v_add_f64 v[198:199], v[194:195], v[198:199]
	v_add_f64 v[196:197], v[194:195], v[196:197]
	v_fma_f64 v[211:212], v[0:1], s[12:13], v[209:210]
	v_add_f64 v[215:216], v[194:195], v[215:216]
	v_fma_f64 v[209:210], v[0:1], s[12:13], -v[209:210]
	v_add_f64 v[213:214], v[194:195], v[213:214]
	v_fma_f64 v[225:226], v[0:1], s[6:7], v[220:221]
	v_add_f64 v[229:230], v[194:195], v[229:230]
	v_fma_f64 v[220:221], v[0:1], s[6:7], -v[220:221]
	;; [unrolled: 4-line block ×5, first 2 shown]
	v_add_f64 v[2:3], v[194:195], v[2:3]
	v_add_f64 v[194:195], v[202:203], -v[206:207]
	v_add_f64 v[10:11], v[192:193], v[10:11]
	v_add_f64 v[8:9], v[192:193], v[8:9]
	;; [unrolled: 1-line block ×13, first 2 shown]
	v_add_f64 v[192:193], v[200:201], -v[204:205]
	v_mul_f64 v[200:201], v[194:195], s[14:15]
	v_add_f64 v[6:7], v[202:203], v[206:207]
	v_fma_f64 v[202:203], v[4:5], s[12:13], v[200:201]
	v_fma_f64 v[200:201], v[4:5], s[12:13], -v[200:201]
	v_add_f64 v[10:11], v[202:203], v[10:11]
	v_mul_f64 v[202:203], v[6:7], s[12:13]
	v_add_f64 v[8:9], v[200:201], v[8:9]
	v_fma_f64 v[200:201], v[192:193], s[14:15], v[202:203]
	v_fma_f64 v[204:205], v[192:193], s[42:43], v[202:203]
	v_add_f64 v[196:197], v[200:201], v[196:197]
	v_mul_f64 v[200:201], v[194:195], s[16:17]
	v_add_f64 v[198:199], v[204:205], v[198:199]
	v_mul_f64 v[204:205], v[6:7], s[18:19]
	v_fma_f64 v[202:203], v[4:5], s[18:19], v[200:201]
	v_fma_f64 v[200:201], v[4:5], s[18:19], -v[200:201]
	v_fma_f64 v[206:207], v[192:193], s[40:41], v[204:205]
	v_fma_f64 v[204:205], v[192:193], s[16:17], v[204:205]
	v_add_f64 v[202:203], v[202:203], v[211:212]
	v_add_f64 v[200:201], v[200:201], v[209:210]
	v_mul_f64 v[209:210], v[194:195], s[28:29]
	v_add_f64 v[204:205], v[204:205], v[213:214]
	v_mul_f64 v[213:214], v[6:7], s[30:31]
	v_add_f64 v[206:207], v[206:207], v[215:216]
	v_fma_f64 v[211:212], v[4:5], s[30:31], v[209:210]
	v_fma_f64 v[209:210], v[4:5], s[30:31], -v[209:210]
	v_fma_f64 v[215:216], v[192:193], s[44:45], v[213:214]
	v_fma_f64 v[213:214], v[192:193], s[28:29], v[213:214]
	v_add_f64 v[211:212], v[211:212], v[225:226]
	v_add_f64 v[209:210], v[209:210], v[220:221]
	v_mul_f64 v[220:221], v[194:195], s[36:37]
	v_add_f64 v[213:214], v[213:214], v[227:228]
	v_mul_f64 v[227:228], v[6:7], s[26:27]
	v_add_f64 v[215:216], v[215:216], v[229:230]
	v_fma_f64 v[225:226], v[4:5], s[26:27], v[220:221]
	v_fma_f64 v[220:221], v[4:5], s[26:27], -v[220:221]
	v_fma_f64 v[229:230], v[192:193], s[24:25], v[227:228]
	v_fma_f64 v[227:228], v[192:193], s[36:37], v[227:228]
	v_add_f64 v[225:226], v[225:226], v[233:234]
	v_add_f64 v[220:221], v[220:221], v[231:232]
	v_mul_f64 v[231:232], v[194:195], s[34:35]
	v_mul_f64 v[194:195], v[194:195], s[38:39]
	v_add_f64 v[227:228], v[227:228], v[235:236]
	v_mul_f64 v[235:236], v[6:7], s[6:7]
	v_mul_f64 v[6:7], v[6:7], s[22:23]
	v_add_f64 v[229:230], v[229:230], v[237:238]
	v_fma_f64 v[233:234], v[4:5], s[6:7], v[231:232]
	v_fma_f64 v[231:232], v[4:5], s[6:7], -v[231:232]
	v_fma_f64 v[237:238], v[192:193], s[4:5], v[235:236]
	v_fma_f64 v[235:236], v[192:193], s[34:35], v[235:236]
	v_add_f64 v[233:234], v[233:234], v[241:242]
	v_add_f64 v[231:232], v[231:232], v[239:240]
	v_fma_f64 v[239:240], v[4:5], s[22:23], v[194:195]
	v_fma_f64 v[4:5], v[4:5], s[22:23], -v[194:195]
	v_fma_f64 v[241:242], v[192:193], s[20:21], v[6:7]
	v_add_f64 v[235:236], v[235:236], v[243:244]
	v_add_f64 v[237:238], v[237:238], v[245:246]
	;; [unrolled: 1-line block ×4, first 2 shown]
	v_fma_f64 v[4:5], v[192:193], s[38:39], v[6:7]
	v_add_f64 v[6:7], v[186:187], v[190:191]
	v_add_f64 v[186:187], v[186:187], -v[190:191]
	v_add_f64 v[241:242], v[241:242], v[249:250]
	v_add_f64 v[2:3], v[4:5], v[2:3]
	;; [unrolled: 1-line block ×3, first 2 shown]
	v_add_f64 v[184:185], v[184:185], -v[188:189]
	v_mul_f64 v[188:189], v[186:187], s[4:5]
	v_fma_f64 v[190:191], v[4:5], s[6:7], v[188:189]
	v_fma_f64 v[188:189], v[4:5], s[6:7], -v[188:189]
	v_add_f64 v[10:11], v[190:191], v[10:11]
	v_mul_f64 v[190:191], v[6:7], s[6:7]
	v_add_f64 v[8:9], v[188:189], v[8:9]
	v_fma_f64 v[192:193], v[184:185], s[34:35], v[190:191]
	v_fma_f64 v[188:189], v[184:185], s[4:5], v[190:191]
	v_mul_f64 v[190:191], v[186:187], s[28:29]
	v_add_f64 v[192:193], v[192:193], v[198:199]
	v_add_f64 v[188:189], v[188:189], v[196:197]
	v_fma_f64 v[194:195], v[4:5], s[30:31], v[190:191]
	v_fma_f64 v[190:191], v[4:5], s[30:31], -v[190:191]
	v_mul_f64 v[196:197], v[6:7], s[30:31]
	v_add_f64 v[194:195], v[194:195], v[202:203]
	v_add_f64 v[190:191], v[190:191], v[200:201]
	v_mul_f64 v[200:201], v[186:187], s[40:41]
	v_fma_f64 v[198:199], v[184:185], s[44:45], v[196:197]
	v_fma_f64 v[196:197], v[184:185], s[28:29], v[196:197]
	;; [unrolled: 1-line block ×3, first 2 shown]
	v_fma_f64 v[200:201], v[4:5], s[18:19], -v[200:201]
	v_add_f64 v[196:197], v[196:197], v[204:205]
	v_mul_f64 v[204:205], v[6:7], s[18:19]
	v_add_f64 v[198:199], v[198:199], v[206:207]
	v_add_f64 v[202:203], v[202:203], v[211:212]
	v_add_f64 v[200:201], v[200:201], v[209:210]
	v_mul_f64 v[209:210], v[186:187], s[38:39]
	v_fma_f64 v[206:207], v[184:185], s[16:17], v[204:205]
	v_fma_f64 v[204:205], v[184:185], s[40:41], v[204:205]
	;; [unrolled: 1-line block ×3, first 2 shown]
	v_fma_f64 v[209:210], v[4:5], s[22:23], -v[209:210]
	v_add_f64 v[204:205], v[204:205], v[213:214]
	v_mul_f64 v[213:214], v[6:7], s[22:23]
	v_add_f64 v[206:207], v[206:207], v[215:216]
	v_add_f64 v[211:212], v[211:212], v[225:226]
	;; [unrolled: 1-line block ×3, first 2 shown]
	v_mul_f64 v[220:221], v[186:187], s[14:15]
	v_fma_f64 v[215:216], v[184:185], s[20:21], v[213:214]
	v_fma_f64 v[213:214], v[184:185], s[38:39], v[213:214]
	v_mul_f64 v[186:187], v[186:187], s[24:25]
	v_fma_f64 v[225:226], v[4:5], s[12:13], v[220:221]
	v_fma_f64 v[220:221], v[4:5], s[12:13], -v[220:221]
	v_add_f64 v[213:214], v[213:214], v[227:228]
	v_mul_f64 v[227:228], v[6:7], s[12:13]
	v_mul_f64 v[6:7], v[6:7], s[26:27]
	v_add_f64 v[215:216], v[215:216], v[229:230]
	v_add_f64 v[225:226], v[225:226], v[233:234]
	;; [unrolled: 1-line block ×3, first 2 shown]
	v_fma_f64 v[231:232], v[4:5], s[26:27], v[186:187]
	v_fma_f64 v[4:5], v[4:5], s[26:27], -v[186:187]
	v_fma_f64 v[233:234], v[184:185], s[36:37], v[6:7]
	v_fma_f64 v[229:230], v[184:185], s[42:43], v[227:228]
	;; [unrolled: 1-line block ×3, first 2 shown]
	v_add_f64 v[231:232], v[231:232], v[239:240]
	v_add_f64 v[0:1], v[4:5], v[0:1]
	v_fma_f64 v[4:5], v[184:185], s[24:25], v[6:7]
	v_add_f64 v[6:7], v[178:179], v[182:183]
	v_add_f64 v[178:179], v[178:179], -v[182:183]
	v_add_f64 v[227:228], v[227:228], v[235:236]
	v_add_f64 v[229:230], v[229:230], v[237:238]
	;; [unrolled: 1-line block ×5, first 2 shown]
	v_add_f64 v[176:177], v[176:177], -v[180:181]
	v_mul_f64 v[180:181], v[178:179], s[16:17]
	v_fma_f64 v[182:183], v[4:5], s[18:19], v[180:181]
	v_fma_f64 v[180:181], v[4:5], s[18:19], -v[180:181]
	v_add_f64 v[10:11], v[182:183], v[10:11]
	v_mul_f64 v[182:183], v[6:7], s[18:19]
	v_add_f64 v[8:9], v[180:181], v[8:9]
	v_fma_f64 v[184:185], v[176:177], s[40:41], v[182:183]
	v_fma_f64 v[180:181], v[176:177], s[16:17], v[182:183]
	v_mul_f64 v[182:183], v[178:179], s[36:37]
	v_add_f64 v[184:185], v[184:185], v[192:193]
	v_add_f64 v[180:181], v[180:181], v[188:189]
	v_fma_f64 v[186:187], v[4:5], s[26:27], v[182:183]
	v_fma_f64 v[182:183], v[4:5], s[26:27], -v[182:183]
	v_mul_f64 v[188:189], v[6:7], s[26:27]
	v_add_f64 v[186:187], v[186:187], v[194:195]
	v_add_f64 v[182:183], v[182:183], v[190:191]
	v_mul_f64 v[190:191], v[178:179], s[38:39]
	v_fma_f64 v[192:193], v[176:177], s[24:25], v[188:189]
	v_fma_f64 v[188:189], v[176:177], s[36:37], v[188:189]
	v_fma_f64 v[194:195], v[4:5], s[22:23], v[190:191]
	v_fma_f64 v[190:191], v[4:5], s[22:23], -v[190:191]
	v_add_f64 v[188:189], v[188:189], v[196:197]
	v_mul_f64 v[196:197], v[6:7], s[22:23]
	v_add_f64 v[192:193], v[192:193], v[198:199]
	v_add_f64 v[194:195], v[194:195], v[202:203]
	;; [unrolled: 1-line block ×3, first 2 shown]
	v_mul_f64 v[200:201], v[178:179], s[4:5]
	v_fma_f64 v[198:199], v[176:177], s[20:21], v[196:197]
	v_fma_f64 v[196:197], v[176:177], s[38:39], v[196:197]
	;; [unrolled: 1-line block ×3, first 2 shown]
	v_fma_f64 v[200:201], v[4:5], s[6:7], -v[200:201]
	v_add_f64 v[196:197], v[196:197], v[204:205]
	v_mul_f64 v[204:205], v[6:7], s[6:7]
	v_add_f64 v[198:199], v[198:199], v[206:207]
	v_add_f64 v[202:203], v[202:203], v[211:212]
	;; [unrolled: 1-line block ×3, first 2 shown]
	v_mul_f64 v[209:210], v[178:179], s[44:45]
	v_fma_f64 v[206:207], v[176:177], s[34:35], v[204:205]
	v_fma_f64 v[204:205], v[176:177], s[4:5], v[204:205]
	v_mul_f64 v[178:179], v[178:179], s[42:43]
	v_fma_f64 v[211:212], v[4:5], s[30:31], v[209:210]
	v_fma_f64 v[209:210], v[4:5], s[30:31], -v[209:210]
	v_add_f64 v[204:205], v[204:205], v[213:214]
	v_mul_f64 v[213:214], v[6:7], s[30:31]
	v_mul_f64 v[6:7], v[6:7], s[12:13]
	v_add_f64 v[206:207], v[206:207], v[215:216]
	v_add_f64 v[211:212], v[211:212], v[225:226]
	;; [unrolled: 1-line block ×3, first 2 shown]
	v_fma_f64 v[220:221], v[4:5], s[12:13], v[178:179]
	v_fma_f64 v[4:5], v[4:5], s[12:13], -v[178:179]
	v_fma_f64 v[225:226], v[176:177], s[14:15], v[6:7]
	v_fma_f64 v[215:216], v[176:177], s[28:29], v[213:214]
	;; [unrolled: 1-line block ×3, first 2 shown]
	v_add_f64 v[220:221], v[220:221], v[231:232]
	v_add_f64 v[0:1], v[4:5], v[0:1]
	v_fma_f64 v[4:5], v[176:177], s[42:43], v[6:7]
	v_add_f64 v[6:7], v[170:171], v[174:175]
	v_add_f64 v[170:171], v[170:171], -v[174:175]
	v_add_f64 v[213:214], v[213:214], v[227:228]
	v_add_f64 v[215:216], v[215:216], v[229:230]
	;; [unrolled: 1-line block ×5, first 2 shown]
	v_add_f64 v[168:169], v[168:169], -v[172:173]
	v_mul_f64 v[172:173], v[170:171], s[24:25]
	v_fma_f64 v[174:175], v[4:5], s[26:27], v[172:173]
	v_fma_f64 v[172:173], v[4:5], s[26:27], -v[172:173]
	v_add_f64 v[10:11], v[174:175], v[10:11]
	v_mul_f64 v[174:175], v[6:7], s[26:27]
	v_add_f64 v[8:9], v[172:173], v[8:9]
	v_fma_f64 v[172:173], v[168:169], s[24:25], v[174:175]
	v_fma_f64 v[176:177], v[168:169], s[36:37], v[174:175]
	v_add_f64 v[178:179], v[172:173], v[180:181]
	v_mul_f64 v[172:173], v[170:171], s[34:35]
	v_add_f64 v[176:177], v[176:177], v[184:185]
	v_fma_f64 v[174:175], v[4:5], s[6:7], v[172:173]
	v_fma_f64 v[172:173], v[4:5], s[6:7], -v[172:173]
	v_add_f64 v[180:181], v[174:175], v[186:187]
	v_mul_f64 v[174:175], v[6:7], s[6:7]
	v_add_f64 v[182:183], v[172:173], v[182:183]
	v_fma_f64 v[172:173], v[168:169], s[34:35], v[174:175]
	v_fma_f64 v[184:185], v[168:169], s[4:5], v[174:175]
	v_add_f64 v[186:187], v[172:173], v[188:189]
	v_mul_f64 v[172:173], v[170:171], s[14:15]
	v_add_f64 v[184:185], v[184:185], v[192:193]
	;; [unrolled: 10-line block ×3, first 2 shown]
	v_fma_f64 v[174:175], v[4:5], s[30:31], v[172:173]
	v_fma_f64 v[172:173], v[4:5], s[30:31], -v[172:173]
	v_add_f64 v[196:197], v[174:175], v[202:203]
	v_mul_f64 v[174:175], v[6:7], s[30:31]
	v_add_f64 v[200:201], v[172:173], v[200:201]
	v_fma_f64 v[172:173], v[168:169], s[44:45], v[174:175]
	v_fma_f64 v[198:199], v[168:169], s[28:29], v[174:175]
	v_add_f64 v[202:203], v[172:173], v[204:205]
	v_mul_f64 v[172:173], v[170:171], s[38:39]
	v_mul_f64 v[170:171], v[170:171], s[16:17]
	v_add_f64 v[198:199], v[198:199], v[206:207]
	v_fma_f64 v[174:175], v[4:5], s[22:23], v[172:173]
	v_fma_f64 v[172:173], v[4:5], s[22:23], -v[172:173]
	v_add_f64 v[204:205], v[174:175], v[211:212]
	v_mul_f64 v[174:175], v[6:7], s[22:23]
	v_add_f64 v[209:210], v[172:173], v[209:210]
	v_mul_f64 v[6:7], v[6:7], s[18:19]
	v_fma_f64 v[172:173], v[168:169], s[38:39], v[174:175]
	v_fma_f64 v[206:207], v[168:169], s[20:21], v[174:175]
	v_add_f64 v[211:212], v[172:173], v[213:214]
	v_fma_f64 v[172:173], v[4:5], s[18:19], v[170:171]
	v_fma_f64 v[4:5], v[4:5], s[18:19], -v[170:171]
	v_add_f64 v[206:207], v[206:207], v[215:216]
	v_add_f64 v[213:214], v[172:173], v[220:221]
	v_fma_f64 v[172:173], v[168:169], s[40:41], v[6:7]
	v_add_f64 v[0:1], v[4:5], v[0:1]
	v_fma_f64 v[4:5], v[168:169], s[16:17], v[6:7]
	v_add_f64 v[220:221], v[160:161], -v[164:165]
	v_add_f64 v[6:7], v[162:163], v[166:167]
	v_add_f64 v[215:216], v[172:173], v[225:226]
	v_add_f64 v[225:226], v[162:163], -v[166:167]
	v_add_f64 v[2:3], v[4:5], v[2:3]
	v_add_f64 v[4:5], v[160:161], v[164:165]
	v_mul_f64 v[160:161], v[225:226], s[28:29]
	v_fma_f64 v[162:163], v[4:5], s[30:31], v[160:161]
	v_fma_f64 v[160:161], v[4:5], s[30:31], -v[160:161]
	v_add_f64 v[172:173], v[162:163], v[10:11]
	v_mul_f64 v[10:11], v[6:7], s[30:31]
	v_add_f64 v[164:165], v[160:161], v[8:9]
	v_fma_f64 v[8:9], v[220:221], s[28:29], v[10:11]
	v_fma_f64 v[162:163], v[220:221], s[44:45], v[10:11]
	v_add_f64 v[166:167], v[8:9], v[178:179]
	v_mul_f64 v[8:9], v[225:226], s[38:39]
	v_add_f64 v[174:175], v[162:163], v[176:177]
	v_fma_f64 v[10:11], v[4:5], s[22:23], v[8:9]
	v_fma_f64 v[8:9], v[4:5], s[22:23], -v[8:9]
	v_add_f64 v[176:177], v[10:11], v[180:181]
	v_mul_f64 v[10:11], v[6:7], s[22:23]
	v_add_f64 v[168:169], v[8:9], v[182:183]
	v_fma_f64 v[8:9], v[220:221], s[38:39], v[10:11]
	v_fma_f64 v[160:161], v[220:221], s[20:21], v[10:11]
	v_add_f64 v[170:171], v[8:9], v[186:187]
	v_mul_f64 v[8:9], v[225:226], s[24:25]
	v_add_f64 v[178:179], v[160:161], v[184:185]
	v_fma_f64 v[10:11], v[4:5], s[26:27], v[8:9]
	v_fma_f64 v[8:9], v[4:5], s[26:27], -v[8:9]
	v_add_f64 v[180:181], v[10:11], v[188:189]
	v_mul_f64 v[10:11], v[6:7], s[26:27]
	v_fma_f64 v[160:161], v[220:221], s[36:37], v[10:11]
	v_add_f64 v[182:183], v[160:161], v[192:193]
	v_add_f64 v[160:161], v[8:9], v[190:191]
	v_fma_f64 v[8:9], v[220:221], s[24:25], v[10:11]
	v_add_f64 v[162:163], v[8:9], v[194:195]
	v_mul_f64 v[8:9], v[225:226], s[42:43]
	v_fma_f64 v[10:11], v[4:5], s[12:13], v[8:9]
	v_fma_f64 v[8:9], v[4:5], s[12:13], -v[8:9]
	v_add_f64 v[184:185], v[10:11], v[196:197]
	v_mul_f64 v[10:11], v[6:7], s[12:13]
	v_add_f64 v[188:189], v[8:9], v[200:201]
	v_fma_f64 v[8:9], v[220:221], s[42:43], v[10:11]
	v_fma_f64 v[186:187], v[220:221], s[14:15], v[10:11]
	v_add_f64 v[190:191], v[8:9], v[202:203]
	v_mul_f64 v[8:9], v[225:226], s[16:17]
	v_add_f64 v[186:187], v[186:187], v[198:199]
	v_fma_f64 v[10:11], v[4:5], s[18:19], v[8:9]
	v_fma_f64 v[8:9], v[4:5], s[18:19], -v[8:9]
	v_add_f64 v[192:193], v[10:11], v[204:205]
	v_mul_f64 v[10:11], v[6:7], s[18:19]
	v_add_f64 v[196:197], v[8:9], v[209:210]
	v_mul_f64 v[6:7], v[6:7], s[6:7]
	v_fma_f64 v[8:9], v[220:221], s[16:17], v[10:11]
	v_fma_f64 v[194:195], v[220:221], s[40:41], v[10:11]
	v_add_f64 v[198:199], v[8:9], v[211:212]
	v_mul_f64 v[8:9], v[225:226], s[34:35]
	v_add_f64 v[194:195], v[194:195], v[206:207]
	v_fma_f64 v[10:11], v[4:5], s[6:7], v[8:9]
	v_fma_f64 v[4:5], v[4:5], s[6:7], -v[8:9]
	v_add_f64 v[200:201], v[10:11], v[213:214]
	v_fma_f64 v[10:11], v[220:221], s[4:5], v[6:7]
	v_add_f64 v[204:205], v[4:5], v[0:1]
	v_fma_f64 v[0:1], v[220:221], s[34:35], v[6:7]
	v_add_f64 v[202:203], v[10:11], v[215:216]
	v_add_f64 v[206:207], v[0:1], v[2:3]
	ds_write_b128 v222, v[156:159]
	ds_write_b128 v222, v[172:175] offset:16
	ds_write_b128 v222, v[176:179] offset:32
	;; [unrolled: 1-line block ×12, first 2 shown]
	s_waitcnt lgkmcnt(0)
	s_barrier
	ds_read_b128 v[172:175], v218
	ds_read_b128 v[204:207], v218 offset:2704
	ds_read_b128 v[200:203], v218 offset:5408
	;; [unrolled: 1-line block ×9, first 2 shown]
	s_and_saveexec_b64 s[0:1], vcc
	s_cbranch_execz .LBB0_7
; %bb.6:
	ds_read_b128 v[160:163], v218 offset:2080
	ds_read_b128 v[168:171], v218 offset:4784
	;; [unrolled: 1-line block ×5, first 2 shown]
.LBB0_7:
	s_or_b64 exec, exec, s[0:1]
	s_waitcnt lgkmcnt(8)
	v_mul_f64 v[0:1], v[86:87], v[206:207]
	s_waitcnt lgkmcnt(7)
	v_mul_f64 v[4:5], v[82:83], v[202:203]
	;; [unrolled: 2-line block ×3, first 2 shown]
	v_mul_f64 v[10:11], v[78:79], v[196:197]
	s_waitcnt lgkmcnt(5)
	v_mul_f64 v[78:79], v[74:75], v[194:195]
	v_mul_f64 v[74:75], v[74:75], v[192:193]
	;; [unrolled: 1-line block ×4, first 2 shown]
	v_fma_f64 v[0:1], v[84:85], v[204:205], v[0:1]
	v_fma_f64 v[4:5], v[80:81], v[200:201], v[4:5]
	;; [unrolled: 1-line block ×3, first 2 shown]
	v_fma_f64 v[10:11], v[76:77], v[198:199], -v[10:11]
	s_waitcnt lgkmcnt(3)
	v_mul_f64 v[76:77], v[98:99], v[190:191]
	v_fma_f64 v[78:79], v[72:73], v[192:193], v[78:79]
	v_fma_f64 v[74:75], v[72:73], v[194:195], -v[74:75]
	v_mul_f64 v[72:73], v[98:99], v[188:189]
	v_add_f64 v[82:83], v[172:173], v[0:1]
	v_fma_f64 v[2:3], v[84:85], v[206:207], -v[2:3]
	v_fma_f64 v[6:7], v[80:81], v[202:203], -v[6:7]
	s_waitcnt lgkmcnt(2)
	v_mul_f64 v[80:81], v[90:91], v[186:187]
	v_add_f64 v[86:87], v[4:5], v[8:9]
	v_mul_f64 v[84:85], v[90:91], v[184:185]
	v_fma_f64 v[90:91], v[96:97], v[188:189], v[76:77]
	s_waitcnt lgkmcnt(1)
	v_mul_f64 v[76:77], v[94:95], v[182:183]
	v_mul_f64 v[94:95], v[94:95], v[180:181]
	v_fma_f64 v[96:97], v[96:97], v[190:191], -v[72:73]
	v_add_f64 v[72:73], v[82:83], v[4:5]
	v_fma_f64 v[98:99], v[88:89], v[184:185], v[80:81]
	v_fma_f64 v[80:81], v[86:87], -0.5, v[172:173]
	v_add_f64 v[82:83], v[2:3], -v[74:75]
	s_mov_b32 s0, 0x134454ff
	v_fma_f64 v[180:181], v[92:93], v[180:181], v[76:77]
	v_fma_f64 v[94:95], v[92:93], v[182:183], -v[94:95]
	s_waitcnt lgkmcnt(0)
	v_mul_f64 v[76:77], v[70:71], v[178:179]
	v_mul_f64 v[70:71], v[70:71], v[176:177]
	v_add_f64 v[72:73], v[72:73], v[8:9]
	v_add_f64 v[182:183], v[0:1], v[78:79]
	s_mov_b32 s1, 0xbfee6f0e
	v_fma_f64 v[184:185], v[88:89], v[186:187], -v[84:85]
	v_fma_f64 v[84:85], v[82:83], s[0:1], v[80:81]
	v_add_f64 v[86:87], v[6:7], -v[10:11]
	v_add_f64 v[88:89], v[0:1], -v[4:5]
	;; [unrolled: 1-line block ×3, first 2 shown]
	s_mov_b32 s15, 0x3fee6f0e
	s_mov_b32 s14, s0
	v_fma_f64 v[176:177], v[68:69], v[176:177], v[76:77]
	v_fma_f64 v[178:179], v[68:69], v[178:179], -v[70:71]
	v_add_f64 v[68:69], v[72:73], v[78:79]
	v_fma_f64 v[72:73], v[182:183], -0.5, v[172:173]
	v_fma_f64 v[80:81], v[82:83], s[14:15], v[80:81]
	s_mov_b32 s6, 0x4755a5e
	s_mov_b32 s7, 0xbfe2cf23
	v_fma_f64 v[70:71], v[86:87], s[6:7], v[84:85]
	v_add_f64 v[76:77], v[88:89], v[92:93]
	s_mov_b32 s13, 0x3fe2cf23
	v_add_f64 v[84:85], v[174:175], v[2:3]
	v_add_f64 v[88:89], v[6:7], v[10:11]
	s_mov_b32 s12, s6
	v_fma_f64 v[92:93], v[86:87], s[14:15], v[72:73]
	v_fma_f64 v[80:81], v[86:87], s[12:13], v[80:81]
	;; [unrolled: 1-line block ×3, first 2 shown]
	s_mov_b32 s4, 0x372fe950
	s_mov_b32 s5, 0x3fd3c6ef
	v_add_f64 v[172:173], v[4:5], -v[0:1]
	v_add_f64 v[182:183], v[8:9], -v[78:79]
	v_add_f64 v[84:85], v[84:85], v[6:7]
	v_fma_f64 v[88:89], v[88:89], -0.5, v[174:175]
	v_add_f64 v[0:1], v[0:1], -v[78:79]
	v_fma_f64 v[72:73], v[76:77], s[4:5], v[70:71]
	v_fma_f64 v[70:71], v[82:83], s[12:13], v[86:87]
	v_add_f64 v[86:87], v[2:3], v[74:75]
	v_fma_f64 v[78:79], v[82:83], s[6:7], v[92:93]
	v_add_f64 v[92:93], v[172:173], v[182:183]
	v_add_f64 v[82:83], v[84:85], v[10:11]
	v_add_f64 v[4:5], v[4:5], -v[8:9]
	v_fma_f64 v[172:173], v[0:1], s[14:15], v[88:89]
	v_add_f64 v[8:9], v[98:99], v[180:181]
	v_fma_f64 v[76:77], v[76:77], s[4:5], v[80:81]
	v_fma_f64 v[86:87], v[86:87], -0.5, v[174:175]
	v_add_f64 v[182:183], v[74:75], -v[10:11]
	v_fma_f64 v[80:81], v[92:93], s[4:5], v[78:79]
	v_add_f64 v[78:79], v[2:3], -v[6:7]
	v_fma_f64 v[84:85], v[92:93], s[4:5], v[70:71]
	v_add_f64 v[70:71], v[82:83], v[74:75]
	v_fma_f64 v[82:83], v[4:5], s[12:13], v[172:173]
	v_add_f64 v[92:93], v[156:157], v[90:91]
	v_fma_f64 v[8:9], v[8:9], -0.5, v[156:157]
	v_add_f64 v[172:173], v[96:97], -v[178:179]
	v_fma_f64 v[174:175], v[4:5], s[0:1], v[86:87]
	v_add_f64 v[2:3], v[6:7], -v[2:3]
	v_add_f64 v[6:7], v[10:11], -v[74:75]
	v_fma_f64 v[10:11], v[4:5], s[14:15], v[86:87]
	v_add_f64 v[78:79], v[78:79], v[182:183]
	v_fma_f64 v[88:89], v[0:1], s[0:1], v[88:89]
	v_add_f64 v[74:75], v[92:93], v[98:99]
	v_fma_f64 v[86:87], v[172:173], s[0:1], v[8:9]
	v_add_f64 v[182:183], v[184:185], -v[94:95]
	v_add_f64 v[92:93], v[90:91], -v[98:99]
	;; [unrolled: 1-line block ×3, first 2 shown]
	v_fma_f64 v[174:175], v[0:1], s[12:13], v[174:175]
	v_add_f64 v[2:3], v[2:3], v[6:7]
	v_fma_f64 v[0:1], v[0:1], s[6:7], v[10:11]
	v_fma_f64 v[4:5], v[4:5], s[6:7], v[88:89]
	v_add_f64 v[88:89], v[90:91], v[176:177]
	v_add_f64 v[6:7], v[74:75], v[180:181]
	v_fma_f64 v[10:11], v[182:183], s[6:7], v[86:87]
	v_add_f64 v[186:187], v[92:93], v[186:187]
	v_fma_f64 v[74:75], v[78:79], s[4:5], v[82:83]
	v_fma_f64 v[82:83], v[2:3], s[4:5], v[174:175]
	;; [unrolled: 1-line block ×3, first 2 shown]
	v_add_f64 v[0:1], v[184:185], v[94:95]
	v_fma_f64 v[2:3], v[172:173], s[14:15], v[8:9]
	v_add_f64 v[8:9], v[96:97], v[178:179]
	v_fma_f64 v[156:157], v[88:89], -0.5, v[156:157]
	v_add_f64 v[88:89], v[6:7], v[176:177]
	v_fma_f64 v[92:93], v[186:187], s[4:5], v[10:11]
	v_add_f64 v[6:7], v[98:99], -v[90:91]
	v_add_f64 v[10:11], v[180:181], -v[176:177]
	v_add_f64 v[174:175], v[158:159], v[96:97]
	v_fma_f64 v[0:1], v[0:1], -0.5, v[158:159]
	v_add_f64 v[90:91], v[90:91], -v[176:177]
	v_add_f64 v[98:99], v[98:99], -v[180:181]
	v_fma_f64 v[8:9], v[8:9], -0.5, v[158:159]
	v_fma_f64 v[78:79], v[78:79], s[4:5], v[4:5]
	v_fma_f64 v[4:5], v[182:183], s[14:15], v[156:157]
	v_add_f64 v[6:7], v[6:7], v[10:11]
	v_fma_f64 v[10:11], v[182:183], s[0:1], v[156:157]
	v_add_f64 v[156:157], v[174:175], v[184:185]
	v_fma_f64 v[158:159], v[90:91], s[14:15], v[0:1]
	v_add_f64 v[174:175], v[96:97], -v[184:185]
	v_add_f64 v[176:177], v[178:179], -v[94:95]
	v_fma_f64 v[2:3], v[182:183], s[12:13], v[2:3]
	v_fma_f64 v[180:181], v[98:99], s[0:1], v[8:9]
	v_add_f64 v[96:97], v[184:185], -v[96:97]
	v_add_f64 v[182:183], v[94:95], -v[178:179]
	v_fma_f64 v[0:1], v[90:91], s[0:1], v[0:1]
	v_fma_f64 v[8:9], v[98:99], s[14:15], v[8:9]
	v_add_f64 v[94:95], v[156:157], v[94:95]
	v_fma_f64 v[158:159], v[98:99], s[12:13], v[158:159]
	v_add_f64 v[174:175], v[174:175], v[176:177]
	v_fma_f64 v[4:5], v[172:173], s[6:7], v[4:5]
	v_fma_f64 v[176:177], v[90:91], s[12:13], v[180:181]
	v_add_f64 v[180:181], v[96:97], v[182:183]
	v_fma_f64 v[10:11], v[172:173], s[12:13], v[10:11]
	v_fma_f64 v[0:1], v[98:99], s[6:7], v[0:1]
	;; [unrolled: 1-line block ×3, first 2 shown]
	v_add_f64 v[90:91], v[94:95], v[178:179]
	v_fma_f64 v[94:95], v[174:175], s[4:5], v[158:159]
	v_fma_f64 v[156:157], v[6:7], s[4:5], v[4:5]
	v_fma_f64 v[96:97], v[186:187], s[4:5], v[2:3]
	v_fma_f64 v[158:159], v[180:181], s[4:5], v[176:177]
	v_fma_f64 v[172:173], v[6:7], s[4:5], v[10:11]
	v_fma_f64 v[98:99], v[174:175], s[4:5], v[0:1]
	v_fma_f64 v[174:175], v[180:181], s[4:5], v[8:9]
	s_barrier
	ds_write_b128 v223, v[68:71]
	ds_write_b128 v223, v[72:75] offset:208
	ds_write_b128 v223, v[80:83] offset:416
	;; [unrolled: 1-line block ×4, first 2 shown]
	ds_write_b128 v224, v[88:91]
	ds_write_b128 v224, v[92:95] offset:208
	ds_write_b128 v224, v[156:159] offset:416
	ds_write_b128 v224, v[172:175] offset:624
	ds_write_b128 v224, v[96:99] offset:832
	s_and_saveexec_b64 s[16:17], vcc
	s_cbranch_execz .LBB0_9
; %bb.8:
	v_mul_f64 v[0:1], v[66:67], v[164:165]
	v_mul_f64 v[2:3], v[54:55], v[168:169]
	;; [unrolled: 1-line block ×8, first 2 shown]
	v_fma_f64 v[0:1], v[64:65], v[166:167], -v[0:1]
	v_fma_f64 v[2:3], v[52:53], v[170:171], -v[2:3]
	v_fma_f64 v[4:5], v[56:57], v[130:131], -v[4:5]
	v_fma_f64 v[6:7], v[60:61], v[122:123], -v[6:7]
	v_fma_f64 v[8:9], v[64:65], v[164:165], v[8:9]
	v_fma_f64 v[10:11], v[60:61], v[120:121], v[10:11]
	;; [unrolled: 1-line block ×4, first 2 shown]
	v_add_f64 v[58:59], v[0:1], -v[2:3]
	v_add_f64 v[54:55], v[2:3], v[4:5]
	v_add_f64 v[66:67], v[0:1], v[6:7]
	v_add_f64 v[60:61], v[6:7], -v[4:5]
	v_add_f64 v[62:63], v[8:9], -v[10:11]
	;; [unrolled: 1-line block ×5, first 2 shown]
	v_add_f64 v[72:73], v[162:163], v[2:3]
	v_fma_f64 v[54:55], v[54:55], -0.5, v[162:163]
	v_fma_f64 v[66:67], v[66:67], -0.5, v[162:163]
	v_add_f64 v[78:79], v[52:53], v[56:57]
	v_add_f64 v[82:83], v[0:1], -v[6:7]
	v_add_f64 v[84:85], v[8:9], v[10:11]
	v_add_f64 v[58:59], v[58:59], v[60:61]
	;; [unrolled: 1-line block ×4, first 2 shown]
	v_fma_f64 v[80:81], v[62:63], s[14:15], v[54:55]
	v_fma_f64 v[54:55], v[62:63], s[0:1], v[54:55]
	;; [unrolled: 1-line block ×4, first 2 shown]
	v_fma_f64 v[70:71], v[78:79], -0.5, v[160:161]
	v_add_f64 v[74:75], v[8:9], -v[52:53]
	v_add_f64 v[76:77], v[10:11], -v[56:57]
	;; [unrolled: 1-line block ×3, first 2 shown]
	v_add_f64 v[86:87], v[160:161], v[52:53]
	v_fma_f64 v[80:81], v[64:65], s[6:7], v[80:81]
	v_fma_f64 v[64:65], v[64:65], s[12:13], v[54:55]
	v_fma_f64 v[72:73], v[84:85], -0.5, v[160:161]
	v_fma_f64 v[60:61], v[62:63], s[6:7], v[60:61]
	v_fma_f64 v[66:67], v[62:63], s[12:13], v[66:67]
	v_add_f64 v[52:53], v[52:53], -v[8:9]
	v_add_f64 v[62:63], v[56:57], -v[10:11]
	v_fma_f64 v[78:79], v[82:83], s[14:15], v[70:71]
	v_fma_f64 v[70:71], v[82:83], s[0:1], v[70:71]
	v_add_f64 v[0:1], v[0:1], v[6:7]
	v_fma_f64 v[54:55], v[58:59], s[4:5], v[80:81]
	v_fma_f64 v[58:59], v[58:59], s[4:5], v[64:65]
	v_fma_f64 v[64:65], v[2:3], s[0:1], v[72:73]
	v_fma_f64 v[72:73], v[2:3], s[14:15], v[72:73]
	v_add_f64 v[6:7], v[74:75], v[76:77]
	v_add_f64 v[74:75], v[52:53], v[62:63]
	v_fma_f64 v[52:53], v[2:3], s[6:7], v[78:79]
	v_fma_f64 v[2:3], v[2:3], s[12:13], v[70:71]
	v_add_f64 v[70:71], v[0:1], v[4:5]
	buffer_load_dword v1, off, s[48:51], 0 offset:48 ; 4-byte Folded Reload
	v_add_f64 v[8:9], v[86:87], v[8:9]
	v_fma_f64 v[72:73], v[82:83], s[12:13], v[72:73]
	v_fma_f64 v[62:63], v[68:69], s[4:5], v[60:61]
	;; [unrolled: 1-line block ×3, first 2 shown]
	v_mul_u32_u24_e32 v0, 0x41, v255
	v_add_f64 v[8:9], v[8:9], v[10:11]
	v_fma_f64 v[10:11], v[82:83], s[6:7], v[64:65]
	v_fma_f64 v[60:61], v[74:75], s[4:5], v[72:73]
	v_add_f64 v[68:69], v[8:9], v[56:57]
	v_fma_f64 v[64:65], v[74:75], s[4:5], v[10:11]
	v_fma_f64 v[56:57], v[6:7], s[4:5], v[52:53]
	v_fma_f64 v[52:53], v[6:7], s[4:5], v[2:3]
	s_waitcnt vmcnt(0)
	v_add_u32_sdwa v0, v0, v1 dst_sel:DWORD dst_unused:UNUSED_PAD src0_sel:DWORD src1_sel:BYTE_0
	v_lshl_add_u32 v0, v0, 4, v219
	ds_write_b128 v0, v[68:71]
	ds_write_b128 v0, v[64:67] offset:208
	ds_write_b128 v0, v[56:59] offset:416
	;; [unrolled: 1-line block ×4, first 2 shown]
.LBB0_9:
	s_or_b64 exec, exec, s[16:17]
	s_waitcnt lgkmcnt(0)
	s_barrier
	ds_read_b128 v[52:55], v218 offset:1040
	ds_read_b128 v[56:59], v218 offset:2080
	ds_read_b128 v[72:75], v218
	ds_read_b128 v[60:63], v218 offset:3120
	s_mov_b32 s0, 0xe00740e9
	s_mov_b32 s1, 0x3fec55a7
	s_waitcnt lgkmcnt(2)
	v_mul_f64 v[4:5], v[134:135], v[58:59]
	v_mul_f64 v[0:1], v[146:147], v[54:55]
	;; [unrolled: 1-line block ×4, first 2 shown]
	s_waitcnt lgkmcnt(0)
	v_mul_f64 v[8:9], v[118:119], v[62:63]
	v_mul_f64 v[10:11], v[118:119], v[60:61]
	s_mov_b32 s6, 0x4267c47c
	s_mov_b32 s7, 0xbfddbe06
	v_fma_f64 v[4:5], v[132:133], v[56:57], v[4:5]
	v_fma_f64 v[0:1], v[144:145], v[52:53], v[0:1]
	v_fma_f64 v[2:3], v[144:145], v[54:55], -v[2:3]
	ds_read_b128 v[52:55], v218 offset:4160
	ds_read_b128 v[64:67], v218 offset:5200
	v_fma_f64 v[6:7], v[132:133], v[58:59], -v[6:7]
	v_fma_f64 v[8:9], v[116:117], v[60:61], v[8:9]
	v_fma_f64 v[10:11], v[116:117], v[62:63], -v[10:11]
	s_waitcnt lgkmcnt(1)
	v_mul_f64 v[84:85], v[110:111], v[54:55]
	v_mul_f64 v[86:87], v[110:111], v[52:53]
	v_add_f64 v[76:77], v[72:73], v[0:1]
	v_add_f64 v[78:79], v[74:75], v[2:3]
	s_waitcnt lgkmcnt(0)
	v_mul_f64 v[92:93], v[150:151], v[66:67]
	ds_read_b128 v[56:59], v218 offset:6240
	ds_read_b128 v[68:71], v218 offset:7280
	v_mul_f64 v[94:95], v[150:151], v[64:65]
	s_mov_b32 s25, 0x3fddbe06
	v_fma_f64 v[96:97], v[108:109], v[52:53], v[84:85]
	v_fma_f64 v[98:99], v[108:109], v[54:55], -v[86:87]
	v_add_f64 v[60:61], v[76:77], v[4:5]
	v_add_f64 v[62:63], v[78:79], v[6:7]
	s_waitcnt lgkmcnt(1)
	v_mul_f64 v[108:109], v[114:115], v[58:59]
	v_fma_f64 v[64:65], v[148:149], v[64:65], v[92:93]
	v_mul_f64 v[110:111], v[114:115], v[56:57]
	v_fma_f64 v[66:67], v[148:149], v[66:67], -v[94:95]
	s_waitcnt lgkmcnt(0)
	v_mul_f64 v[92:93], v[106:107], v[70:71]
	v_mul_f64 v[94:95], v[106:107], v[68:69]
	v_add_f64 v[60:61], v[60:61], v[8:9]
	v_add_f64 v[62:63], v[62:63], v[10:11]
	v_fma_f64 v[56:57], v[112:113], v[56:57], v[108:109]
	ds_read_b128 v[76:79], v218 offset:8320
	ds_read_b128 v[80:83], v218 offset:9360
	v_fma_f64 v[58:59], v[112:113], v[58:59], -v[110:111]
	ds_read_b128 v[52:55], v218 offset:10400
	ds_read_b128 v[84:87], v218 offset:11440
	;; [unrolled: 1-line block ×3, first 2 shown]
	s_mov_b32 s24, s6
	s_waitcnt lgkmcnt(4)
	v_mul_f64 v[110:111], v[102:103], v[78:79]
	v_add_f64 v[60:61], v[60:61], v[96:97]
	v_add_f64 v[62:63], v[62:63], v[98:99]
	v_mul_f64 v[102:103], v[102:103], v[76:77]
	s_waitcnt lgkmcnt(2)
	v_mul_f64 v[112:113], v[138:139], v[54:55]
	s_mov_b32 s18, 0x1ea71119
	s_mov_b32 s12, 0xebaa3ed8
	;; [unrolled: 1-line block ×4, first 2 shown]
	v_add_f64 v[106:107], v[60:61], v[64:65]
	v_add_f64 v[108:109], v[62:63], v[66:67]
	v_fma_f64 v[60:61], v[104:105], v[68:69], v[92:93]
	v_fma_f64 v[62:63], v[104:105], v[70:71], -v[94:95]
	v_mul_f64 v[104:105], v[154:155], v[82:83]
	v_fma_f64 v[68:69], v[100:101], v[76:77], v[110:111]
	v_fma_f64 v[70:71], v[100:101], v[78:79], -v[102:103]
	s_waitcnt lgkmcnt(1)
	v_mul_f64 v[100:101], v[126:127], v[86:87]
	v_add_f64 v[92:93], v[106:107], v[56:57]
	v_add_f64 v[94:95], v[108:109], v[58:59]
	s_waitcnt lgkmcnt(0)
	v_mul_f64 v[108:109], v[142:143], v[88:89]
	v_mul_f64 v[106:107], v[154:155], v[80:81]
	v_fma_f64 v[80:81], v[152:153], v[80:81], v[104:105]
	v_fma_f64 v[104:105], v[136:137], v[52:53], v[112:113]
	s_mov_b32 s34, 0xd0032e0c
	s_mov_b32 s40, 0x93053d00
	v_add_f64 v[76:77], v[92:93], v[60:61]
	v_mul_f64 v[92:93], v[142:143], v[90:91]
	v_fma_f64 v[90:91], v[140:141], v[90:91], -v[108:109]
	v_add_f64 v[78:79], v[94:95], v[62:63]
	v_mul_f64 v[94:95], v[138:139], v[52:53]
	v_fma_f64 v[82:83], v[152:153], v[82:83], -v[106:107]
	s_mov_b32 s19, 0x3fe22d96
	s_mov_b32 s13, 0x3fbedb7d
	v_add_f64 v[76:77], v[76:77], v[68:69]
	v_fma_f64 v[88:89], v[140:141], v[88:89], v[92:93]
	v_add_f64 v[102:103], v[2:3], -v[90:91]
	v_add_f64 v[2:3], v[2:3], v[90:91]
	v_add_f64 v[78:79], v[78:79], v[70:71]
	v_mul_f64 v[92:93], v[126:127], v[84:85]
	v_fma_f64 v[84:85], v[124:125], v[84:85], v[100:101]
	v_fma_f64 v[94:95], v[136:137], v[54:55], -v[94:95]
	v_add_f64 v[52:53], v[76:77], v[80:81]
	v_add_f64 v[76:77], v[0:1], v[88:89]
	v_add_f64 v[0:1], v[0:1], -v[88:89]
	v_mul_f64 v[106:107], v[2:3], s[0:1]
	v_add_f64 v[54:55], v[78:79], v[82:83]
	v_fma_f64 v[86:87], v[124:125], v[86:87], -v[92:93]
	s_mov_b32 s27, 0xbfd6b1d8
	s_mov_b32 s31, 0xbfe5384d
	v_add_f64 v[52:53], v[52:53], v[104:105]
	s_mov_b32 s35, 0xbfe7f3cc
	s_mov_b32 s41, 0xbfef11f4
	v_fma_f64 v[100:101], v[0:1], s[24:25], v[106:107]
	v_fma_f64 v[106:107], v[0:1], s[6:7], v[106:107]
	v_mul_f64 v[78:79], v[102:103], s[6:7]
	v_add_f64 v[54:55], v[54:55], v[94:95]
	v_mul_f64 v[112:113], v[2:3], s[12:13]
	v_add_f64 v[52:53], v[52:53], v[84:85]
	v_mul_f64 v[124:125], v[2:3], s[26:27]
	v_mul_f64 v[126:127], v[102:103], s[30:31]
	;; [unrolled: 1-line block ×3, first 2 shown]
	v_add_f64 v[136:137], v[6:7], v[86:87]
	v_add_f64 v[6:7], v[6:7], -v[86:87]
	s_mov_b32 s16, 0x42a4c3d2
	s_mov_b32 s4, 0x66966769
	v_add_f64 v[52:53], v[52:53], v[88:89]
	v_add_f64 v[88:89], v[74:75], v[106:107]
	v_mul_f64 v[106:107], v[2:3], s[18:19]
	v_mul_f64 v[2:3], v[2:3], s[40:41]
	s_mov_b32 s22, 0x2ef20147
	s_mov_b32 s38, 0x4bc48dbf
	s_mov_b32 s17, 0xbfea55e2
	s_mov_b32 s21, 0x3fea55e2
	s_mov_b32 s20, s16
	s_mov_b32 s5, 0xbfefc445
	s_mov_b32 s15, 0x3fefc445
	s_mov_b32 s14, s4
	s_mov_b32 s23, 0xbfedeba7
	s_mov_b32 s29, 0x3fedeba7
	s_mov_b32 s28, s22
	s_mov_b32 s36, s30
	s_mov_b32 s39, 0xbfcea1e5
	s_mov_b32 s43, 0x3fcea1e5
	s_mov_b32 s42, s38
	v_fma_f64 v[92:93], v[76:77], s[0:1], v[78:79]
	v_add_f64 v[54:55], v[54:55], v[86:87]
	v_mul_f64 v[108:109], v[102:103], s[16:17]
	v_mul_f64 v[110:111], v[102:103], s[4:5]
	v_fma_f64 v[114:115], v[0:1], s[20:21], v[106:107]
	v_fma_f64 v[106:107], v[0:1], s[16:17], v[106:107]
	;; [unrolled: 1-line block ×3, first 2 shown]
	v_mul_f64 v[120:121], v[102:103], s[22:23]
	v_fma_f64 v[112:113], v[0:1], s[4:5], v[112:113]
	v_fma_f64 v[130:131], v[0:1], s[28:29], v[124:125]
	;; [unrolled: 1-line block ×5, first 2 shown]
	v_mul_f64 v[102:103], v[102:103], s[38:39]
	v_fma_f64 v[126:127], v[76:77], s[34:35], -v[126:127]
	v_fma_f64 v[128:129], v[0:1], s[30:31], v[128:129]
	v_add_f64 v[138:139], v[4:5], v[84:85]
	v_add_f64 v[4:5], v[4:5], -v[84:85]
	v_mul_f64 v[84:85], v[6:7], s[16:17]
	v_mul_f64 v[140:141], v[136:137], s[18:19]
	v_fma_f64 v[142:143], v[0:1], s[42:43], v[2:3]
	v_fma_f64 v[0:1], v[0:1], s[38:39], v[2:3]
	v_fma_f64 v[78:79], v[76:77], s[0:1], -v[78:79]
	v_add_f64 v[92:93], v[72:73], v[92:93]
	v_add_f64 v[100:101], v[74:75], v[100:101]
	;; [unrolled: 1-line block ×3, first 2 shown]
	v_fma_f64 v[90:91], v[76:77], s[18:19], v[108:109]
	v_fma_f64 v[108:109], v[76:77], s[18:19], -v[108:109]
	v_fma_f64 v[116:117], v[76:77], s[12:13], v[110:111]
	v_add_f64 v[114:115], v[74:75], v[114:115]
	v_add_f64 v[106:107], v[74:75], v[106:107]
	;; [unrolled: 1-line block ×3, first 2 shown]
	v_fma_f64 v[110:111], v[76:77], s[12:13], -v[110:111]
	v_fma_f64 v[122:123], v[76:77], s[26:27], v[120:121]
	v_fma_f64 v[120:121], v[76:77], s[26:27], -v[120:121]
	v_add_f64 v[112:113], v[74:75], v[112:113]
	v_add_f64 v[130:131], v[74:75], v[130:131]
	;; [unrolled: 1-line block ×4, first 2 shown]
	v_fma_f64 v[86:87], v[76:77], s[40:41], v[102:103]
	v_fma_f64 v[76:77], v[76:77], s[40:41], -v[102:103]
	v_add_f64 v[2:3], v[72:73], v[126:127]
	v_add_f64 v[102:103], v[74:75], v[128:129]
	v_fma_f64 v[126:127], v[138:139], s[18:19], v[84:85]
	v_fma_f64 v[128:129], v[4:5], s[20:21], v[140:141]
	v_add_f64 v[142:143], v[74:75], v[142:143]
	v_add_f64 v[0:1], v[74:75], v[0:1]
	v_mul_f64 v[74:75], v[6:7], s[22:23]
	v_add_f64 v[78:79], v[72:73], v[78:79]
	v_add_f64 v[90:91], v[72:73], v[90:91]
	v_add_f64 v[108:109], v[72:73], v[108:109]
	v_add_f64 v[116:117], v[72:73], v[116:117]
	v_add_f64 v[110:111], v[72:73], v[110:111]
	v_add_f64 v[122:123], v[72:73], v[122:123]
	v_add_f64 v[120:121], v[72:73], v[120:121]
	v_add_f64 v[132:133], v[72:73], v[132:133]
	v_add_f64 v[86:87], v[72:73], v[86:87]
	v_add_f64 v[72:73], v[72:73], v[76:77]
	v_mul_f64 v[76:77], v[136:137], s[26:27]
	v_add_f64 v[92:93], v[126:127], v[92:93]
	v_add_f64 v[100:101], v[128:129], v[100:101]
	v_fma_f64 v[84:85], v[138:139], s[18:19], -v[84:85]
	v_fma_f64 v[126:127], v[4:5], s[16:17], v[140:141]
	v_mul_f64 v[128:129], v[6:7], s[38:39]
	v_mul_f64 v[140:141], v[136:137], s[40:41]
	v_fma_f64 v[144:145], v[138:139], s[26:27], v[74:75]
	v_fma_f64 v[74:75], v[138:139], s[26:27], -v[74:75]
	v_fma_f64 v[146:147], v[4:5], s[28:29], v[76:77]
	v_fma_f64 v[76:77], v[4:5], s[22:23], v[76:77]
	v_add_f64 v[78:79], v[84:85], v[78:79]
	v_add_f64 v[84:85], v[126:127], v[88:89]
	v_fma_f64 v[88:89], v[138:139], s[40:41], v[128:129]
	v_fma_f64 v[126:127], v[4:5], s[42:43], v[140:141]
	v_fma_f64 v[128:129], v[138:139], s[40:41], -v[128:129]
	v_add_f64 v[74:75], v[74:75], v[108:109]
	v_mul_f64 v[108:109], v[136:137], s[34:35]
	v_add_f64 v[114:115], v[146:147], v[114:115]
	v_add_f64 v[76:77], v[76:77], v[106:107]
	v_mul_f64 v[106:107], v[6:7], s[36:37]
	v_add_f64 v[88:89], v[88:89], v[116:117]
	v_add_f64 v[116:117], v[126:127], v[118:119]
	v_mul_f64 v[118:119], v[6:7], s[14:15]
	v_mul_f64 v[126:127], v[136:137], s[12:13]
	v_fma_f64 v[146:147], v[4:5], s[30:31], v[108:109]
	v_add_f64 v[90:91], v[144:145], v[90:91]
	v_fma_f64 v[108:109], v[4:5], s[36:37], v[108:109]
	v_fma_f64 v[144:145], v[138:139], s[34:35], v[106:107]
	v_fma_f64 v[106:107], v[138:139], s[34:35], -v[106:107]
	v_add_f64 v[110:111], v[128:129], v[110:111]
	v_fma_f64 v[148:149], v[138:139], s[12:13], v[118:119]
	v_fma_f64 v[150:151], v[4:5], s[4:5], v[126:127]
	v_add_f64 v[128:129], v[146:147], v[130:131]
	v_add_f64 v[130:131], v[10:11], -v[94:95]
	v_add_f64 v[10:11], v[10:11], v[94:95]
	v_fma_f64 v[140:141], v[4:5], s[38:39], v[140:141]
	v_add_f64 v[106:107], v[106:107], v[120:121]
	v_add_f64 v[108:109], v[108:109], v[124:125]
	;; [unrolled: 1-line block ×4, first 2 shown]
	v_mul_f64 v[94:95], v[136:137], s[0:1]
	v_fma_f64 v[118:119], v[138:139], s[12:13], -v[118:119]
	v_fma_f64 v[126:127], v[4:5], s[14:15], v[126:127]
	v_add_f64 v[132:133], v[8:9], v[104:105]
	v_add_f64 v[8:9], v[8:9], -v[104:105]
	v_mul_f64 v[104:105], v[130:131], s[4:5]
	v_mul_f64 v[134:135], v[10:11], s[12:13]
	v_add_f64 v[112:113], v[140:141], v[112:113]
	v_mul_f64 v[6:7], v[6:7], s[24:25]
	v_fma_f64 v[140:141], v[4:5], s[6:7], v[94:95]
	v_fma_f64 v[4:5], v[4:5], s[24:25], v[94:95]
	v_add_f64 v[2:3], v[118:119], v[2:3]
	v_add_f64 v[94:95], v[126:127], v[102:103]
	v_fma_f64 v[102:103], v[132:133], s[12:13], v[104:105]
	v_fma_f64 v[118:119], v[8:9], s[14:15], v[134:135]
	v_add_f64 v[122:123], v[144:145], v[122:123]
	v_fma_f64 v[136:137], v[138:139], s[0:1], v[6:7]
	v_fma_f64 v[6:7], v[138:139], s[0:1], -v[6:7]
	v_add_f64 v[0:1], v[4:5], v[0:1]
	v_mul_f64 v[4:5], v[130:131], s[38:39]
	v_add_f64 v[126:127], v[140:141], v[142:143]
	v_add_f64 v[92:93], v[102:103], v[92:93]
	;; [unrolled: 1-line block ×3, first 2 shown]
	v_fma_f64 v[102:103], v[132:133], s[12:13], -v[104:105]
	v_fma_f64 v[104:105], v[8:9], s[4:5], v[134:135]
	v_mul_f64 v[118:119], v[130:131], s[28:29]
	v_mul_f64 v[134:135], v[10:11], s[26:27]
	v_add_f64 v[86:87], v[136:137], v[86:87]
	v_add_f64 v[6:7], v[6:7], v[72:73]
	v_mul_f64 v[72:73], v[10:11], s[40:41]
	v_fma_f64 v[136:137], v[132:133], s[40:41], v[4:5]
	v_fma_f64 v[4:5], v[132:133], s[40:41], -v[4:5]
	v_add_f64 v[78:79], v[102:103], v[78:79]
	v_add_f64 v[84:85], v[104:105], v[84:85]
	v_fma_f64 v[102:103], v[132:133], s[26:27], v[118:119]
	v_fma_f64 v[104:105], v[8:9], s[22:23], v[134:135]
	v_fma_f64 v[118:119], v[132:133], s[26:27], -v[118:119]
	v_fma_f64 v[138:139], v[8:9], s[42:43], v[72:73]
	v_fma_f64 v[72:73], v[8:9], s[38:39], v[72:73]
	v_add_f64 v[4:5], v[4:5], v[74:75]
	v_mul_f64 v[74:75], v[130:131], s[24:25]
	v_add_f64 v[90:91], v[136:137], v[90:91]
	v_add_f64 v[88:89], v[102:103], v[88:89]
	;; [unrolled: 1-line block ×3, first 2 shown]
	v_mul_f64 v[104:105], v[130:131], s[16:17]
	v_mul_f64 v[116:117], v[10:11], s[18:19]
	v_add_f64 v[72:73], v[72:73], v[76:77]
	v_mul_f64 v[76:77], v[10:11], s[0:1]
	v_fma_f64 v[136:137], v[132:133], s[0:1], v[74:75]
	v_fma_f64 v[74:75], v[132:133], s[0:1], -v[74:75]
	v_add_f64 v[114:115], v[138:139], v[114:115]
	v_fma_f64 v[134:135], v[8:9], s[28:29], v[134:135]
	v_fma_f64 v[140:141], v[132:133], s[18:19], v[104:105]
	;; [unrolled: 1-line block ×3, first 2 shown]
	v_add_f64 v[110:111], v[118:119], v[110:111]
	v_fma_f64 v[138:139], v[8:9], s[6:7], v[76:77]
	v_fma_f64 v[76:77], v[8:9], s[24:25], v[76:77]
	v_add_f64 v[74:75], v[74:75], v[106:107]
	v_add_f64 v[118:119], v[136:137], v[122:123]
	v_mul_f64 v[10:11], v[10:11], s[34:35]
	v_add_f64 v[106:107], v[140:141], v[120:121]
	v_add_f64 v[120:121], v[98:99], -v[82:83]
	v_add_f64 v[82:83], v[98:99], v[82:83]
	v_add_f64 v[122:123], v[138:139], v[128:129]
	;; [unrolled: 1-line block ×4, first 2 shown]
	v_mul_f64 v[98:99], v[130:131], s[30:31]
	v_fma_f64 v[104:105], v[132:133], s[18:19], -v[104:105]
	v_fma_f64 v[116:117], v[8:9], s[16:17], v[116:117]
	v_add_f64 v[124:125], v[96:97], v[80:81]
	v_add_f64 v[80:81], v[96:97], -v[80:81]
	v_mul_f64 v[96:97], v[120:121], s[22:23]
	v_mul_f64 v[128:129], v[82:83], s[26:27]
	v_add_f64 v[112:113], v[134:135], v[112:113]
	v_fma_f64 v[130:131], v[132:133], s[34:35], v[98:99]
	v_fma_f64 v[134:135], v[8:9], s[36:37], v[10:11]
	v_fma_f64 v[98:99], v[132:133], s[34:35], -v[98:99]
	v_fma_f64 v[8:9], v[8:9], s[30:31], v[10:11]
	v_add_f64 v[2:3], v[104:105], v[2:3]
	v_add_f64 v[10:11], v[116:117], v[94:95]
	v_fma_f64 v[94:95], v[124:125], s[26:27], v[96:97]
	v_fma_f64 v[104:105], v[80:81], s[28:29], v[128:129]
	v_fma_f64 v[96:97], v[124:125], s[26:27], -v[96:97]
	v_add_f64 v[116:117], v[134:135], v[126:127]
	v_add_f64 v[6:7], v[98:99], v[6:7]
	;; [unrolled: 1-line block ×3, first 2 shown]
	v_mul_f64 v[8:9], v[120:121], s[36:37]
	v_mul_f64 v[98:99], v[82:83], s[34:35]
	v_add_f64 v[92:93], v[94:95], v[92:93]
	v_add_f64 v[94:95], v[104:105], v[100:101]
	v_fma_f64 v[100:101], v[80:81], s[22:23], v[128:129]
	v_mul_f64 v[104:105], v[120:121], s[24:25]
	v_mul_f64 v[126:127], v[82:83], s[0:1]
	v_add_f64 v[86:87], v[130:131], v[86:87]
	v_fma_f64 v[128:129], v[124:125], s[34:35], v[8:9]
	v_fma_f64 v[130:131], v[80:81], s[30:31], v[98:99]
	v_fma_f64 v[8:9], v[124:125], s[34:35], -v[8:9]
	v_fma_f64 v[98:99], v[80:81], s[36:37], v[98:99]
	v_add_f64 v[78:79], v[96:97], v[78:79]
	v_add_f64 v[84:85], v[100:101], v[84:85]
	v_fma_f64 v[96:97], v[124:125], s[0:1], v[104:105]
	v_fma_f64 v[100:101], v[80:81], s[6:7], v[126:127]
	v_add_f64 v[90:91], v[128:129], v[90:91]
	v_add_f64 v[114:115], v[130:131], v[114:115]
	;; [unrolled: 1-line block ×4, first 2 shown]
	v_mul_f64 v[72:73], v[120:121], s[4:5]
	v_mul_f64 v[98:99], v[82:83], s[12:13]
	v_add_f64 v[88:89], v[96:97], v[88:89]
	v_add_f64 v[96:97], v[100:101], v[102:103]
	v_fma_f64 v[100:101], v[124:125], s[0:1], -v[104:105]
	v_fma_f64 v[102:103], v[80:81], s[24:25], v[126:127]
	v_mul_f64 v[104:105], v[120:121], s[42:43]
	v_mul_f64 v[126:127], v[82:83], s[40:41]
	v_fma_f64 v[128:129], v[124:125], s[12:13], v[72:73]
	v_fma_f64 v[130:131], v[80:81], s[14:15], v[98:99]
	v_fma_f64 v[72:73], v[124:125], s[12:13], -v[72:73]
	v_fma_f64 v[98:99], v[80:81], s[4:5], v[98:99]
	v_add_f64 v[100:101], v[100:101], v[110:111]
	v_add_f64 v[102:103], v[102:103], v[112:113]
	v_fma_f64 v[110:111], v[124:125], s[40:41], v[104:105]
	v_fma_f64 v[112:113], v[80:81], s[38:39], v[126:127]
	v_mul_f64 v[82:83], v[82:83], s[18:19]
	v_add_f64 v[118:119], v[128:129], v[118:119]
	v_add_f64 v[72:73], v[72:73], v[74:75]
	;; [unrolled: 1-line block ×3, first 2 shown]
	v_mul_f64 v[76:77], v[120:121], s[20:21]
	v_add_f64 v[120:121], v[64:65], v[68:69]
	v_add_f64 v[98:99], v[110:111], v[106:107]
	;; [unrolled: 1-line block ×3, first 2 shown]
	v_add_f64 v[108:109], v[66:67], -v[70:71]
	v_add_f64 v[66:67], v[66:67], v[70:71]
	v_fma_f64 v[70:71], v[124:125], s[40:41], -v[104:105]
	v_fma_f64 v[104:105], v[80:81], s[42:43], v[126:127]
	v_fma_f64 v[110:111], v[124:125], s[18:19], v[76:77]
	v_add_f64 v[64:65], v[64:65], -v[68:69]
	v_fma_f64 v[112:113], v[80:81], s[16:17], v[82:83]
	v_fma_f64 v[76:77], v[124:125], s[18:19], -v[76:77]
	v_mul_f64 v[68:69], v[108:109], s[30:31]
	v_mul_f64 v[126:127], v[66:67], s[34:35]
	v_fma_f64 v[80:81], v[80:81], s[20:21], v[82:83]
	v_add_f64 v[2:3], v[70:71], v[2:3]
	v_add_f64 v[10:11], v[104:105], v[10:11]
	;; [unrolled: 1-line block ×5, first 2 shown]
	v_fma_f64 v[86:87], v[120:121], s[34:35], v[68:69]
	v_fma_f64 v[104:105], v[64:65], s[36:37], v[126:127]
	v_add_f64 v[0:1], v[80:81], v[0:1]
	v_mul_f64 v[76:77], v[108:109], s[14:15]
	v_mul_f64 v[80:81], v[66:67], s[12:13]
	v_fma_f64 v[68:69], v[120:121], s[34:35], -v[68:69]
	v_fma_f64 v[110:111], v[64:65], s[30:31], v[126:127]
	v_add_f64 v[122:123], v[130:131], v[122:123]
	v_add_f64 v[86:87], v[86:87], v[92:93]
	;; [unrolled: 1-line block ×3, first 2 shown]
	v_mul_f64 v[94:95], v[108:109], s[16:17]
	v_mul_f64 v[104:105], v[66:67], s[18:19]
	v_fma_f64 v[112:113], v[120:121], s[12:13], v[76:77]
	v_fma_f64 v[116:117], v[64:65], s[4:5], v[80:81]
	v_add_f64 v[68:69], v[68:69], v[78:79]
	v_add_f64 v[78:79], v[110:111], v[84:85]
	v_fma_f64 v[76:77], v[120:121], s[12:13], -v[76:77]
	v_fma_f64 v[80:81], v[64:65], s[14:15], v[80:81]
	v_fma_f64 v[84:85], v[120:121], s[18:19], v[94:95]
	;; [unrolled: 1-line block ×3, first 2 shown]
	v_add_f64 v[90:91], v[112:113], v[90:91]
	v_add_f64 v[112:113], v[116:117], v[114:115]
	v_mul_f64 v[114:115], v[108:109], s[42:43]
	v_mul_f64 v[116:117], v[66:67], s[40:41]
	v_add_f64 v[4:5], v[76:77], v[4:5]
	v_add_f64 v[8:9], v[80:81], v[8:9]
	;; [unrolled: 1-line block ×4, first 2 shown]
	v_fma_f64 v[84:85], v[120:121], s[18:19], -v[94:95]
	v_fma_f64 v[88:89], v[64:65], s[16:17], v[104:105]
	v_mul_f64 v[104:105], v[108:109], s[24:25]
	v_mul_f64 v[110:111], v[66:67], s[0:1]
	v_fma_f64 v[94:95], v[120:121], s[40:41], v[114:115]
	v_fma_f64 v[114:115], v[120:121], s[40:41], -v[114:115]
	v_fma_f64 v[96:97], v[64:65], s[38:39], v[116:117]
	v_fma_f64 v[116:117], v[64:65], s[42:43], v[116:117]
	v_add_f64 v[84:85], v[84:85], v[100:101]
	v_add_f64 v[88:89], v[88:89], v[102:103]
	v_fma_f64 v[100:101], v[120:121], s[0:1], v[104:105]
	v_fma_f64 v[102:103], v[64:65], s[6:7], v[110:111]
	v_mul_f64 v[66:67], v[66:67], s[26:27]
	v_add_f64 v[114:115], v[114:115], v[72:73]
	v_fma_f64 v[72:73], v[120:121], s[0:1], -v[104:105]
	v_mul_f64 v[104:105], v[108:109], s[22:23]
	v_add_f64 v[116:117], v[116:117], v[74:75]
	v_fma_f64 v[74:75], v[64:65], s[24:25], v[110:111]
	v_add_f64 v[98:99], v[100:101], v[98:99]
	v_add_f64 v[100:101], v[102:103], v[106:107]
	v_add_f64 v[102:103], v[58:59], -v[62:63]
	v_add_f64 v[106:107], v[58:59], v[62:63]
	v_fma_f64 v[62:63], v[64:65], s[28:29], v[66:67]
	v_fma_f64 v[58:59], v[120:121], s[26:27], v[104:105]
	v_add_f64 v[108:109], v[56:57], v[60:61]
	v_add_f64 v[110:111], v[56:57], -v[60:61]
	v_add_f64 v[2:3], v[72:73], v[2:3]
	v_add_f64 v[10:11], v[74:75], v[10:11]
	v_mul_f64 v[56:57], v[102:103], s[38:39]
	v_mul_f64 v[60:61], v[106:107], s[40:41]
	v_fma_f64 v[72:73], v[120:121], s[26:27], -v[104:105]
	v_fma_f64 v[64:65], v[64:65], s[22:23], v[66:67]
	v_add_f64 v[104:105], v[58:59], v[70:71]
	v_mul_f64 v[70:71], v[102:103], s[24:25]
	v_mul_f64 v[74:75], v[106:107], s[0:1]
	v_add_f64 v[94:95], v[94:95], v[118:119]
	v_add_f64 v[118:119], v[62:63], v[82:83]
	v_fma_f64 v[58:59], v[108:109], s[40:41], v[56:57]
	v_fma_f64 v[62:63], v[110:111], s[42:43], v[60:61]
	v_add_f64 v[6:7], v[72:73], v[6:7]
	v_add_f64 v[0:1], v[64:65], v[0:1]
	v_fma_f64 v[64:65], v[108:109], s[40:41], -v[56:57]
	v_fma_f64 v[66:67], v[110:111], s[38:39], v[60:61]
	v_fma_f64 v[72:73], v[108:109], s[0:1], v[70:71]
	;; [unrolled: 1-line block ×3, first 2 shown]
	v_add_f64 v[56:57], v[58:59], v[86:87]
	v_add_f64 v[58:59], v[62:63], v[92:93]
	v_mul_f64 v[86:87], v[102:103], s[30:31]
	v_mul_f64 v[92:93], v[106:107], s[34:35]
	v_add_f64 v[60:61], v[64:65], v[68:69]
	v_add_f64 v[62:63], v[66:67], v[78:79]
	;; [unrolled: 1-line block ×4, first 2 shown]
	v_fma_f64 v[68:69], v[108:109], s[0:1], -v[70:71]
	v_fma_f64 v[70:71], v[110:111], s[24:25], v[74:75]
	v_mul_f64 v[82:83], v[102:103], s[20:21]
	v_mul_f64 v[90:91], v[106:107], s[18:19]
	v_fma_f64 v[72:73], v[108:109], s[34:35], v[86:87]
	v_fma_f64 v[78:79], v[108:109], s[34:35], -v[86:87]
	v_fma_f64 v[86:87], v[110:111], s[30:31], v[92:93]
	v_add_f64 v[96:97], v[96:97], v[122:123]
	v_fma_f64 v[74:75], v[110:111], s[36:37], v[92:93]
	v_add_f64 v[68:69], v[68:69], v[4:5]
	v_add_f64 v[70:71], v[70:71], v[8:9]
	v_fma_f64 v[4:5], v[108:109], s[18:19], v[82:83]
	v_fma_f64 v[8:9], v[110:111], s[16:17], v[90:91]
	v_add_f64 v[72:73], v[72:73], v[76:77]
	v_add_f64 v[76:77], v[78:79], v[84:85]
	;; [unrolled: 1-line block ×3, first 2 shown]
	v_fma_f64 v[86:87], v[110:111], s[20:21], v[90:91]
	v_mul_f64 v[88:89], v[102:103], s[22:23]
	v_mul_f64 v[90:91], v[106:107], s[26:27]
	v_add_f64 v[74:75], v[74:75], v[80:81]
	v_fma_f64 v[84:85], v[108:109], s[18:19], -v[82:83]
	v_add_f64 v[80:81], v[4:5], v[94:95]
	v_add_f64 v[82:83], v[8:9], v[96:97]
	v_mul_f64 v[4:5], v[102:103], s[14:15]
	v_mul_f64 v[8:9], v[106:107], s[12:13]
	v_fma_f64 v[92:93], v[108:109], s[26:27], v[88:89]
	v_fma_f64 v[94:95], v[110:111], s[28:29], v[90:91]
	v_fma_f64 v[96:97], v[108:109], s[26:27], -v[88:89]
	v_fma_f64 v[102:103], v[110:111], s[22:23], v[90:91]
	v_add_f64 v[84:85], v[84:85], v[114:115]
	v_add_f64 v[86:87], v[86:87], v[116:117]
	v_fma_f64 v[106:107], v[108:109], s[12:13], v[4:5]
	v_fma_f64 v[112:113], v[110:111], s[4:5], v[8:9]
	v_fma_f64 v[4:5], v[108:109], s[12:13], -v[4:5]
	v_fma_f64 v[8:9], v[110:111], s[14:15], v[8:9]
	v_add_f64 v[88:89], v[92:93], v[98:99]
	v_add_f64 v[90:91], v[94:95], v[100:101]
	;; [unrolled: 1-line block ×8, first 2 shown]
	ds_write_b128 v218, v[52:55]
	ds_write_b128 v218, v[56:59] offset:1040
	ds_write_b128 v218, v[64:67] offset:2080
	;; [unrolled: 1-line block ×12, first 2 shown]
	s_waitcnt lgkmcnt(0)
	s_barrier
	ds_read_b128 v[52:55], v218
	ds_read_b128 v[56:59], v218 offset:1040
	v_mad_u64_u32 v[0:1], s[0:1], s10, v208, 0
	s_waitcnt lgkmcnt(1)
	v_mul_f64 v[2:3], v[50:51], v[54:55]
	v_mul_f64 v[4:5], v[50:51], v[52:53]
	v_mad_u64_u32 v[6:7], s[0:1], s11, v208, v[1:2]
	v_mad_u64_u32 v[7:8], s[0:1], s8, v217, 0
	v_fma_f64 v[2:3], v[48:49], v[52:53], v[2:3]
	v_fma_f64 v[4:5], v[48:49], v[54:55], -v[4:5]
	v_mov_b32_e32 v1, v6
	v_mov_b32_e32 v6, v8
	v_mad_u64_u32 v[8:9], s[0:1], s9, v217, v[6:7]
	s_mov_b32 s0, 0x622898b1
	s_mov_b32 s1, 0x3f5363ac
	v_mul_f64 v[48:49], v[2:3], s[0:1]
	s_waitcnt lgkmcnt(0)
	v_mul_f64 v[2:3], v[26:27], v[58:59]
	v_mul_f64 v[50:51], v[4:5], s[0:1]
	;; [unrolled: 1-line block ×3, first 2 shown]
	v_lshlrev_b64 v[0:1], 4, v[0:1]
	v_mov_b32_e32 v6, s3
	v_add_co_u32_e32 v9, vcc, s2, v0
	v_addc_co_u32_e32 v6, vcc, v6, v1, vcc
	v_fma_f64 v[2:3], v[24:25], v[56:57], v[2:3]
	v_fma_f64 v[4:5], v[24:25], v[58:59], -v[4:5]
	ds_read_b128 v[24:27], v218 offset:2080
	ds_read_b128 v[52:55], v218 offset:3120
	v_lshlrev_b64 v[0:1], 4, v[7:8]
	s_mul_i32 s2, s9, 0x410
	v_add_co_u32_e32 v0, vcc, v9, v0
	v_addc_co_u32_e32 v1, vcc, v6, v1, vcc
	global_store_dwordx4 v[0:1], v[48:51], off
	s_waitcnt lgkmcnt(1)
	v_mul_f64 v[6:7], v[34:35], v[24:25]
	v_mul_f64 v[48:49], v[2:3], s[0:1]
	;; [unrolled: 1-line block ×4, first 2 shown]
	s_waitcnt lgkmcnt(0)
	v_mul_f64 v[8:9], v[14:15], v[52:53]
	s_mul_hi_u32 s3, s8, 0x410
	s_add_i32 s2, s3, s2
	s_mul_i32 s3, s8, 0x410
	v_fma_f64 v[4:5], v[32:33], v[26:27], -v[6:7]
	v_mul_f64 v[6:7], v[14:15], v[54:55]
	v_fma_f64 v[2:3], v[32:33], v[24:25], v[2:3]
	ds_read_b128 v[32:35], v218 offset:4160
	v_mov_b32_e32 v10, s2
	v_add_co_u32_e32 v0, vcc, s3, v0
	v_addc_co_u32_e32 v1, vcc, v1, v10, vcc
	v_mul_f64 v[26:27], v[4:5], s[0:1]
	v_mul_f64 v[24:25], v[2:3], s[0:1]
	v_fma_f64 v[2:3], v[12:13], v[52:53], v[6:7]
	v_fma_f64 v[4:5], v[12:13], v[54:55], -v[8:9]
	ds_read_b128 v[12:15], v218 offset:5200
	s_waitcnt lgkmcnt(1)
	v_mul_f64 v[6:7], v[46:47], v[34:35]
	v_mul_f64 v[8:9], v[46:47], v[32:33]
	global_store_dwordx4 v[0:1], v[48:51], off
	v_add_co_u32_e32 v0, vcc, s3, v0
	v_addc_co_u32_e32 v1, vcc, v1, v10, vcc
	global_store_dwordx4 v[0:1], v[24:27], off
	v_add_co_u32_e32 v0, vcc, s3, v0
	v_mul_f64 v[24:25], v[2:3], s[0:1]
	v_mul_f64 v[26:27], v[4:5], s[0:1]
	v_fma_f64 v[2:3], v[44:45], v[32:33], v[6:7]
	v_fma_f64 v[4:5], v[44:45], v[34:35], -v[8:9]
	s_waitcnt lgkmcnt(0)
	v_mul_f64 v[6:7], v[18:19], v[14:15]
	v_mul_f64 v[8:9], v[18:19], v[12:13]
	ds_read_b128 v[32:35], v218 offset:6240
	v_addc_co_u32_e32 v1, vcc, v1, v10, vcc
	global_store_dwordx4 v[0:1], v[24:27], off
	v_add_co_u32_e32 v0, vcc, s3, v0
	v_mul_f64 v[24:25], v[2:3], s[0:1]
	v_mul_f64 v[26:27], v[4:5], s[0:1]
	v_fma_f64 v[2:3], v[16:17], v[12:13], v[6:7]
	v_fma_f64 v[4:5], v[16:17], v[14:15], -v[8:9]
	ds_read_b128 v[12:15], v218 offset:7280
	s_waitcnt lgkmcnt(1)
	v_mul_f64 v[6:7], v[38:39], v[34:35]
	v_mul_f64 v[8:9], v[38:39], v[32:33]
	v_addc_co_u32_e32 v1, vcc, v1, v10, vcc
	global_store_dwordx4 v[0:1], v[24:27], off
	v_mul_f64 v[16:17], v[2:3], s[0:1]
	v_mul_f64 v[18:19], v[4:5], s[0:1]
	v_add_co_u32_e32 v0, vcc, s3, v0
	v_fma_f64 v[2:3], v[36:37], v[32:33], v[6:7]
	v_fma_f64 v[4:5], v[36:37], v[34:35], -v[8:9]
	buffer_load_dword v32, off, s[48:51], 0 offset:16 ; 4-byte Folded Reload
	buffer_load_dword v33, off, s[48:51], 0 offset:20 ; 4-byte Folded Reload
	;; [unrolled: 1-line block ×4, first 2 shown]
	ds_read_b128 v[24:27], v218 offset:8320
	v_addc_co_u32_e32 v1, vcc, v1, v10, vcc
	global_store_dwordx4 v[0:1], v[16:19], off
	v_add_co_u32_e32 v0, vcc, s3, v0
	v_mul_f64 v[16:17], v[2:3], s[0:1]
	v_mul_f64 v[18:19], v[4:5], s[0:1]
	s_waitcnt vmcnt(1) lgkmcnt(1)
	v_mul_f64 v[6:7], v[34:35], v[14:15]
	v_mul_f64 v[8:9], v[34:35], v[12:13]
	v_mov_b32_e32 v34, s2
	v_addc_co_u32_e32 v1, vcc, v1, v34, vcc
	global_store_dwordx4 v[0:1], v[16:19], off
	v_add_co_u32_e32 v0, vcc, s3, v0
	v_fma_f64 v[2:3], v[32:33], v[12:13], v[6:7]
	ds_read_b128 v[4:7], v218 offset:9360
	v_fma_f64 v[8:9], v[32:33], v[14:15], -v[8:9]
	s_waitcnt lgkmcnt(1)
	v_mul_f64 v[32:33], v[42:43], v[24:25]
	v_mul_f64 v[10:11], v[42:43], v[26:27]
	v_mov_b32_e32 v16, s2
	v_addc_co_u32_e32 v1, vcc, v1, v16, vcc
	v_mul_f64 v[12:13], v[2:3], s[0:1]
	v_mul_f64 v[14:15], v[8:9], s[0:1]
	v_fma_f64 v[8:9], v[40:41], v[26:27], -v[32:33]
	buffer_load_dword v32, off, s[48:51], 0 offset:32 ; 4-byte Folded Reload
	buffer_load_dword v33, off, s[48:51], 0 offset:36 ; 4-byte Folded Reload
	;; [unrolled: 1-line block ×4, first 2 shown]
	v_fma_f64 v[2:3], v[40:41], v[24:25], v[10:11]
	global_store_dwordx4 v[0:1], v[12:15], off
	ds_read_b128 v[14:17], v218 offset:10400
	v_mul_f64 v[12:13], v[8:9], s[0:1]
	v_mul_f64 v[10:11], v[2:3], s[0:1]
	v_mov_b32_e32 v8, s2
	v_add_co_u32_e32 v0, vcc, s3, v0
	v_addc_co_u32_e32 v1, vcc, v1, v8, vcc
	global_store_dwordx4 v[0:1], v[10:13], off
	v_add_co_u32_e32 v0, vcc, s3, v0
	s_waitcnt vmcnt(2) lgkmcnt(1)
	v_mul_f64 v[18:19], v[34:35], v[6:7]
	v_mul_f64 v[24:25], v[34:35], v[4:5]
	v_fma_f64 v[2:3], v[32:33], v[4:5], v[18:19]
	v_fma_f64 v[18:19], v[32:33], v[6:7], -v[24:25]
	ds_read_b128 v[4:7], v218 offset:11440
	s_waitcnt lgkmcnt(1)
	v_mul_f64 v[24:25], v[30:31], v[16:17]
	v_mul_f64 v[26:27], v[30:31], v[14:15]
	;; [unrolled: 1-line block ×4, first 2 shown]
	v_mov_b32_e32 v18, s2
	v_fma_f64 v[2:3], v[28:29], v[14:15], v[24:25]
	v_fma_f64 v[16:17], v[28:29], v[16:17], -v[26:27]
	ds_read_b128 v[12:15], v218 offset:12480
	buffer_load_dword v28, off, s[48:51], 0 ; 4-byte Folded Reload
	buffer_load_dword v29, off, s[48:51], 0 offset:4 ; 4-byte Folded Reload
	buffer_load_dword v30, off, s[48:51], 0 offset:8 ; 4-byte Folded Reload
	;; [unrolled: 1-line block ×3, first 2 shown]
	v_addc_co_u32_e32 v1, vcc, v1, v18, vcc
	global_store_dwordx4 v[0:1], v[8:11], off
	s_waitcnt lgkmcnt(0)
	v_mul_f64 v[26:27], v[22:23], v[14:15]
	v_mul_f64 v[22:23], v[22:23], v[12:13]
	;; [unrolled: 1-line block ×4, first 2 shown]
	v_mov_b32_e32 v16, s2
	s_waitcnt vmcnt(1)
	v_mul_f64 v[18:19], v[30:31], v[6:7]
	v_mul_f64 v[24:25], v[30:31], v[4:5]
	v_fma_f64 v[2:3], v[28:29], v[4:5], v[18:19]
	v_fma_f64 v[4:5], v[28:29], v[6:7], -v[24:25]
	v_fma_f64 v[6:7], v[20:21], v[12:13], v[26:27]
	v_fma_f64 v[12:13], v[20:21], v[14:15], -v[22:23]
	v_add_co_u32_e32 v14, vcc, s3, v0
	v_addc_co_u32_e32 v15, vcc, v1, v16, vcc
	v_mul_f64 v[0:1], v[2:3], s[0:1]
	v_mul_f64 v[2:3], v[4:5], s[0:1]
	;; [unrolled: 1-line block ×4, first 2 shown]
	global_store_dwordx4 v[14:15], v[8:11], off
	s_nop 0
	v_mov_b32_e32 v9, s2
	v_add_co_u32_e32 v8, vcc, s3, v14
	v_addc_co_u32_e32 v9, vcc, v15, v9, vcc
	global_store_dwordx4 v[8:9], v[0:3], off
	s_nop 0
	v_mov_b32_e32 v1, s2
	v_add_co_u32_e32 v0, vcc, s3, v8
	v_addc_co_u32_e32 v1, vcc, v9, v1, vcc
	global_store_dwordx4 v[0:1], v[4:7], off
.LBB0_10:
	s_endpgm
	.section	.rodata,"a",@progbits
	.p2align	6, 0x0
	.amdhsa_kernel bluestein_single_back_len845_dim1_dp_op_CI_CI
		.amdhsa_group_segment_fixed_size 40560
		.amdhsa_private_segment_fixed_size 56
		.amdhsa_kernarg_size 104
		.amdhsa_user_sgpr_count 6
		.amdhsa_user_sgpr_private_segment_buffer 1
		.amdhsa_user_sgpr_dispatch_ptr 0
		.amdhsa_user_sgpr_queue_ptr 0
		.amdhsa_user_sgpr_kernarg_segment_ptr 1
		.amdhsa_user_sgpr_dispatch_id 0
		.amdhsa_user_sgpr_flat_scratch_init 0
		.amdhsa_user_sgpr_private_segment_size 0
		.amdhsa_uses_dynamic_stack 0
		.amdhsa_system_sgpr_private_segment_wavefront_offset 1
		.amdhsa_system_sgpr_workgroup_id_x 1
		.amdhsa_system_sgpr_workgroup_id_y 0
		.amdhsa_system_sgpr_workgroup_id_z 0
		.amdhsa_system_sgpr_workgroup_info 0
		.amdhsa_system_vgpr_workitem_id 0
		.amdhsa_next_free_vgpr 256
		.amdhsa_next_free_sgpr 52
		.amdhsa_reserve_vcc 1
		.amdhsa_reserve_flat_scratch 0
		.amdhsa_float_round_mode_32 0
		.amdhsa_float_round_mode_16_64 0
		.amdhsa_float_denorm_mode_32 3
		.amdhsa_float_denorm_mode_16_64 3
		.amdhsa_dx10_clamp 1
		.amdhsa_ieee_mode 1
		.amdhsa_fp16_overflow 0
		.amdhsa_exception_fp_ieee_invalid_op 0
		.amdhsa_exception_fp_denorm_src 0
		.amdhsa_exception_fp_ieee_div_zero 0
		.amdhsa_exception_fp_ieee_overflow 0
		.amdhsa_exception_fp_ieee_underflow 0
		.amdhsa_exception_fp_ieee_inexact 0
		.amdhsa_exception_int_div_zero 0
	.end_amdhsa_kernel
	.text
.Lfunc_end0:
	.size	bluestein_single_back_len845_dim1_dp_op_CI_CI, .Lfunc_end0-bluestein_single_back_len845_dim1_dp_op_CI_CI
                                        ; -- End function
	.section	.AMDGPU.csdata,"",@progbits
; Kernel info:
; codeLenInByte = 23852
; NumSgprs: 56
; NumVgprs: 256
; ScratchSize: 56
; MemoryBound: 0
; FloatMode: 240
; IeeeMode: 1
; LDSByteSize: 40560 bytes/workgroup (compile time only)
; SGPRBlocks: 6
; VGPRBlocks: 63
; NumSGPRsForWavesPerEU: 56
; NumVGPRsForWavesPerEU: 256
; Occupancy: 1
; WaveLimiterHint : 1
; COMPUTE_PGM_RSRC2:SCRATCH_EN: 1
; COMPUTE_PGM_RSRC2:USER_SGPR: 6
; COMPUTE_PGM_RSRC2:TRAP_HANDLER: 0
; COMPUTE_PGM_RSRC2:TGID_X_EN: 1
; COMPUTE_PGM_RSRC2:TGID_Y_EN: 0
; COMPUTE_PGM_RSRC2:TGID_Z_EN: 0
; COMPUTE_PGM_RSRC2:TIDIG_COMP_CNT: 0
	.type	__hip_cuid_92a417845a55b831,@object ; @__hip_cuid_92a417845a55b831
	.section	.bss,"aw",@nobits
	.globl	__hip_cuid_92a417845a55b831
__hip_cuid_92a417845a55b831:
	.byte	0                               ; 0x0
	.size	__hip_cuid_92a417845a55b831, 1

	.ident	"AMD clang version 19.0.0git (https://github.com/RadeonOpenCompute/llvm-project roc-6.4.0 25133 c7fe45cf4b819c5991fe208aaa96edf142730f1d)"
	.section	".note.GNU-stack","",@progbits
	.addrsig
	.addrsig_sym __hip_cuid_92a417845a55b831
	.amdgpu_metadata
---
amdhsa.kernels:
  - .args:
      - .actual_access:  read_only
        .address_space:  global
        .offset:         0
        .size:           8
        .value_kind:     global_buffer
      - .actual_access:  read_only
        .address_space:  global
        .offset:         8
        .size:           8
        .value_kind:     global_buffer
      - .actual_access:  read_only
        .address_space:  global
        .offset:         16
        .size:           8
        .value_kind:     global_buffer
      - .actual_access:  read_only
        .address_space:  global
        .offset:         24
        .size:           8
        .value_kind:     global_buffer
      - .actual_access:  read_only
        .address_space:  global
        .offset:         32
        .size:           8
        .value_kind:     global_buffer
      - .offset:         40
        .size:           8
        .value_kind:     by_value
      - .address_space:  global
        .offset:         48
        .size:           8
        .value_kind:     global_buffer
      - .address_space:  global
        .offset:         56
        .size:           8
        .value_kind:     global_buffer
      - .address_space:  global
        .offset:         64
        .size:           8
        .value_kind:     global_buffer
      - .address_space:  global
        .offset:         72
        .size:           8
        .value_kind:     global_buffer
      - .offset:         80
        .size:           4
        .value_kind:     by_value
      - .address_space:  global
        .offset:         88
        .size:           8
        .value_kind:     global_buffer
      - .address_space:  global
        .offset:         96
        .size:           8
        .value_kind:     global_buffer
    .group_segment_fixed_size: 40560
    .kernarg_segment_align: 8
    .kernarg_segment_size: 104
    .language:       OpenCL C
    .language_version:
      - 2
      - 0
    .max_flat_workgroup_size: 195
    .name:           bluestein_single_back_len845_dim1_dp_op_CI_CI
    .private_segment_fixed_size: 56
    .sgpr_count:     56
    .sgpr_spill_count: 0
    .symbol:         bluestein_single_back_len845_dim1_dp_op_CI_CI.kd
    .uniform_work_group_size: 1
    .uses_dynamic_stack: false
    .vgpr_count:     256
    .vgpr_spill_count: 13
    .wavefront_size: 64
amdhsa.target:   amdgcn-amd-amdhsa--gfx906
amdhsa.version:
  - 1
  - 2
...

	.end_amdgpu_metadata
